;; amdgpu-corpus repo=ROCm/rocSOLVER kind=compiled arch=gfx1250 opt=O3
	.amdgcn_target "amdgcn-amd-amdhsa--gfx1250"
	.amdhsa_code_object_version 6
	.section	.text._ZN9rocsolver6v33100L10ger_kernelI19rocblas_complex_numIfEiPKS3_PS3_S6_S6_EEvT0_S7_T1_lT2_lS7_lT3_lS7_lT4_lS7_S7_l,"axG",@progbits,_ZN9rocsolver6v33100L10ger_kernelI19rocblas_complex_numIfEiPKS3_PS3_S6_S6_EEvT0_S7_T1_lT2_lS7_lT3_lS7_lT4_lS7_S7_l,comdat
	.globl	_ZN9rocsolver6v33100L10ger_kernelI19rocblas_complex_numIfEiPKS3_PS3_S6_S6_EEvT0_S7_T1_lT2_lS7_lT3_lS7_lT4_lS7_S7_l ; -- Begin function _ZN9rocsolver6v33100L10ger_kernelI19rocblas_complex_numIfEiPKS3_PS3_S6_S6_EEvT0_S7_T1_lT2_lS7_lT3_lS7_lT4_lS7_S7_l
	.p2align	8
	.type	_ZN9rocsolver6v33100L10ger_kernelI19rocblas_complex_numIfEiPKS3_PS3_S6_S6_EEvT0_S7_T1_lT2_lS7_lT3_lS7_lT4_lS7_S7_l,@function
_ZN9rocsolver6v33100L10ger_kernelI19rocblas_complex_numIfEiPKS3_PS3_S6_S6_EEvT0_S7_T1_lT2_lS7_lT3_lS7_lT4_lS7_S7_l: ; @_ZN9rocsolver6v33100L10ger_kernelI19rocblas_complex_numIfEiPKS3_PS3_S6_S6_EEvT0_S7_T1_lT2_lS7_lT3_lS7_lT4_lS7_S7_l
; %bb.0:
	s_clause 0x1
	s_load_b32 s4, s[0:1], 0x84
	s_load_b64 s[2:3], s[0:1], 0x0
	s_bfe_u32 s6, ttmp6, 0x40010
	s_bfe_u32 s9, ttmp6, 0x4000c
	s_and_b32 s5, ttmp7, 0xffff
	s_add_co_i32 s6, s6, 1
	s_add_co_i32 s9, s9, 1
	s_bfe_u32 s7, ttmp6, 0x40004
	s_and_b32 s8, ttmp6, 15
	s_mul_i32 s6, s5, s6
	s_mul_i32 s9, ttmp9, s9
	s_getreg_b32 s27, hwreg(HW_REG_IB_STS2, 6, 4)
	v_and_b32_e32 v1, 0x3ff, v0
	v_bfe_u32 v0, v0, 10, 10
	s_add_co_i32 s7, s7, s6
	s_add_co_i32 s8, s8, s9
	s_wait_kmcnt 0x0
	s_lshr_b32 s6, s4, 16
	s_and_b32 s4, s4, 0xffff
	s_cmp_eq_u32 s27, 0
	s_cselect_b32 s8, ttmp9, s8
	s_cselect_b32 s5, s5, s7
	v_mad_u32 v1, s8, s4, v1
	v_mad_u32 v0, s5, s6, v0
	s_delay_alu instid0(VALU_DEP_2) | instskip(NEXT) | instid1(VALU_DEP_2)
	v_cmp_gt_i32_e32 vcc_lo, s2, v1
	v_cmp_gt_i32_e64 s2, s3, v0
	s_mov_b32 s3, 0
	s_and_b32 s2, vcc_lo, s2
	s_delay_alu instid0(SALU_CYCLE_1)
	s_and_saveexec_b32 s4, s2
	s_cbranch_execz .LBB0_2
; %bb.1:
	s_clause 0x4
	s_load_b32 s2, s[0:1], 0x28
	s_load_b128 s[20:23], s[0:1], 0x30
	s_load_b256 s[4:11], s[0:1], 0x8
	s_load_b96 s[24:26], s[0:1], 0x40
	s_load_b256 s[12:19], s[0:1], 0x50
	s_wait_kmcnt 0x0
	s_bfe_u32 s7, ttmp6, 0x40014
	s_lshr_b32 s28, ttmp7, 16
	s_add_co_i32 s7, s7, 1
	s_bfe_u32 s29, ttmp6, 0x40008
	s_mul_i32 s7, s28, s7
	s_load_b64 s[0:1], s[0:1], 0x70
	s_add_co_i32 s29, s29, s7
	s_cmp_eq_u32 s27, 0
	v_mul_lo_u32 v2, v1, s2
	s_cselect_b32 s2, s28, s29
	s_lshl_b64 s[10:11], s[10:11], 3
	s_mul_u64 s[20:21], s[20:21], s[2:3]
	v_mul_lo_u32 v4, v0, s26
	s_lshl_b64 s[20:21], s[20:21], 3
	v_mul_lo_u32 v1, v1, s18
	s_add_nc_u64 s[8:9], s[8:9], s[20:21]
	s_delay_alu instid0(SALU_CYCLE_1)
	s_add_nc_u64 s[8:9], s[8:9], s[10:11]
	s_lshl_b64 s[10:11], s[24:25], 3
	global_load_b64 v[2:3], v2, s[8:9] scale_offset
	s_wait_xcnt 0x0
	s_mul_u64 s[8:9], s[12:13], s[2:3]
	s_wait_kmcnt 0x0
	s_mul_u64 s[0:1], s[0:1], s[2:3]
	s_lshl_b64 s[8:9], s[8:9], 3
	s_lshl_b64 s[0:1], s[0:1], 3
	s_add_nc_u64 s[8:9], s[22:23], s[8:9]
	v_mad_u32 v10, v0, s19, v1
	s_add_nc_u64 s[8:9], s[8:9], s[10:11]
	s_add_nc_u64 s[0:1], s[14:15], s[0:1]
	global_load_b64 v[4:5], v4, s[8:9] scale_offset
	s_wait_xcnt 0x0
	s_lshl_b64 s[8:9], s[16:17], 3
	s_mul_i32 s2, s2, s6
	s_add_nc_u64 s[0:1], s[0:1], s[8:9]
	s_ashr_i32 s3, s2, 31
	s_delay_alu instid0(SALU_CYCLE_1)
	s_lshl_b64 s[2:3], s[2:3], 3
	global_load_b64 v[0:1], v10, s[0:1] scale_offset
	s_add_nc_u64 s[2:3], s[4:5], s[2:3]
	s_load_b64 s[4:5], s[2:3], 0x0
	s_wait_kmcnt 0x0
	v_mov_b64_e32 v[6:7], s[4:5]
	s_wait_loadcnt 0x2
	s_delay_alu instid0(VALU_DEP_1) | instskip(SKIP_1) | instid1(VALU_DEP_2)
	v_pk_mul_f32 v[8:9], v[6:7], v[2:3] op_sel:[1,0] op_sel_hi:[0,1]
	v_pk_mul_f32 v[2:3], v[6:7], v[2:3]
	v_add_f32_e32 v8, v8, v9
	s_delay_alu instid0(VALU_DEP_2) | instskip(SKIP_1) | instid1(VALU_DEP_2)
	v_pk_add_f32 v[2:3], v[2:3], v[2:3] op_sel:[0,1] op_sel_hi:[0,1] neg_lo:[0,1] neg_hi:[0,1]
	s_wait_loadcnt 0x1
	v_pk_mul_f32 v[6:7], v[4:5], v[8:9] op_sel:[1,0] op_sel_hi:[0,0]
	s_delay_alu instid0(VALU_DEP_1) | instskip(SKIP_1) | instid1(VALU_DEP_2)
	v_pk_fma_f32 v[8:9], v[4:5], v[2:3], v[6:7]
	v_pk_fma_f32 v[2:3], v[4:5], v[2:3], v[6:7] neg_lo:[0,0,1] neg_hi:[0,0,1]
	v_mov_b32_e32 v3, v9
	s_wait_loadcnt 0x0
	s_delay_alu instid0(VALU_DEP_1)
	v_pk_add_f32 v[0:1], v[0:1], v[2:3]
	global_store_b64 v10, v[0:1], s[0:1] scale_offset
.LBB0_2:
	s_endpgm
	.section	.rodata,"a",@progbits
	.p2align	6, 0x0
	.amdhsa_kernel _ZN9rocsolver6v33100L10ger_kernelI19rocblas_complex_numIfEiPKS3_PS3_S6_S6_EEvT0_S7_T1_lT2_lS7_lT3_lS7_lT4_lS7_S7_l
		.amdhsa_group_segment_fixed_size 0
		.amdhsa_private_segment_fixed_size 0
		.amdhsa_kernarg_size 376
		.amdhsa_user_sgpr_count 2
		.amdhsa_user_sgpr_dispatch_ptr 0
		.amdhsa_user_sgpr_queue_ptr 0
		.amdhsa_user_sgpr_kernarg_segment_ptr 1
		.amdhsa_user_sgpr_dispatch_id 0
		.amdhsa_user_sgpr_kernarg_preload_length 0
		.amdhsa_user_sgpr_kernarg_preload_offset 0
		.amdhsa_user_sgpr_private_segment_size 0
		.amdhsa_wavefront_size32 1
		.amdhsa_uses_dynamic_stack 0
		.amdhsa_enable_private_segment 0
		.amdhsa_system_sgpr_workgroup_id_x 1
		.amdhsa_system_sgpr_workgroup_id_y 1
		.amdhsa_system_sgpr_workgroup_id_z 1
		.amdhsa_system_sgpr_workgroup_info 0
		.amdhsa_system_vgpr_workitem_id 1
		.amdhsa_next_free_vgpr 11
		.amdhsa_next_free_sgpr 30
		.amdhsa_named_barrier_count 0
		.amdhsa_reserve_vcc 1
		.amdhsa_float_round_mode_32 0
		.amdhsa_float_round_mode_16_64 0
		.amdhsa_float_denorm_mode_32 3
		.amdhsa_float_denorm_mode_16_64 3
		.amdhsa_fp16_overflow 0
		.amdhsa_memory_ordered 1
		.amdhsa_forward_progress 1
		.amdhsa_inst_pref_size 5
		.amdhsa_round_robin_scheduling 0
		.amdhsa_exception_fp_ieee_invalid_op 0
		.amdhsa_exception_fp_denorm_src 0
		.amdhsa_exception_fp_ieee_div_zero 0
		.amdhsa_exception_fp_ieee_overflow 0
		.amdhsa_exception_fp_ieee_underflow 0
		.amdhsa_exception_fp_ieee_inexact 0
		.amdhsa_exception_int_div_zero 0
	.end_amdhsa_kernel
	.section	.text._ZN9rocsolver6v33100L10ger_kernelI19rocblas_complex_numIfEiPKS3_PS3_S6_S6_EEvT0_S7_T1_lT2_lS7_lT3_lS7_lT4_lS7_S7_l,"axG",@progbits,_ZN9rocsolver6v33100L10ger_kernelI19rocblas_complex_numIfEiPKS3_PS3_S6_S6_EEvT0_S7_T1_lT2_lS7_lT3_lS7_lT4_lS7_S7_l,comdat
.Lfunc_end0:
	.size	_ZN9rocsolver6v33100L10ger_kernelI19rocblas_complex_numIfEiPKS3_PS3_S6_S6_EEvT0_S7_T1_lT2_lS7_lT3_lS7_lT4_lS7_S7_l, .Lfunc_end0-_ZN9rocsolver6v33100L10ger_kernelI19rocblas_complex_numIfEiPKS3_PS3_S6_S6_EEvT0_S7_T1_lT2_lS7_lT3_lS7_lT4_lS7_S7_l
                                        ; -- End function
	.set _ZN9rocsolver6v33100L10ger_kernelI19rocblas_complex_numIfEiPKS3_PS3_S6_S6_EEvT0_S7_T1_lT2_lS7_lT3_lS7_lT4_lS7_S7_l.num_vgpr, 11
	.set _ZN9rocsolver6v33100L10ger_kernelI19rocblas_complex_numIfEiPKS3_PS3_S6_S6_EEvT0_S7_T1_lT2_lS7_lT3_lS7_lT4_lS7_S7_l.num_agpr, 0
	.set _ZN9rocsolver6v33100L10ger_kernelI19rocblas_complex_numIfEiPKS3_PS3_S6_S6_EEvT0_S7_T1_lT2_lS7_lT3_lS7_lT4_lS7_S7_l.numbered_sgpr, 30
	.set _ZN9rocsolver6v33100L10ger_kernelI19rocblas_complex_numIfEiPKS3_PS3_S6_S6_EEvT0_S7_T1_lT2_lS7_lT3_lS7_lT4_lS7_S7_l.num_named_barrier, 0
	.set _ZN9rocsolver6v33100L10ger_kernelI19rocblas_complex_numIfEiPKS3_PS3_S6_S6_EEvT0_S7_T1_lT2_lS7_lT3_lS7_lT4_lS7_S7_l.private_seg_size, 0
	.set _ZN9rocsolver6v33100L10ger_kernelI19rocblas_complex_numIfEiPKS3_PS3_S6_S6_EEvT0_S7_T1_lT2_lS7_lT3_lS7_lT4_lS7_S7_l.uses_vcc, 1
	.set _ZN9rocsolver6v33100L10ger_kernelI19rocblas_complex_numIfEiPKS3_PS3_S6_S6_EEvT0_S7_T1_lT2_lS7_lT3_lS7_lT4_lS7_S7_l.uses_flat_scratch, 0
	.set _ZN9rocsolver6v33100L10ger_kernelI19rocblas_complex_numIfEiPKS3_PS3_S6_S6_EEvT0_S7_T1_lT2_lS7_lT3_lS7_lT4_lS7_S7_l.has_dyn_sized_stack, 0
	.set _ZN9rocsolver6v33100L10ger_kernelI19rocblas_complex_numIfEiPKS3_PS3_S6_S6_EEvT0_S7_T1_lT2_lS7_lT3_lS7_lT4_lS7_S7_l.has_recursion, 0
	.set _ZN9rocsolver6v33100L10ger_kernelI19rocblas_complex_numIfEiPKS3_PS3_S6_S6_EEvT0_S7_T1_lT2_lS7_lT3_lS7_lT4_lS7_S7_l.has_indirect_call, 0
	.section	.AMDGPU.csdata,"",@progbits
; Kernel info:
; codeLenInByte = 564
; TotalNumSgprs: 32
; NumVgprs: 11
; ScratchSize: 0
; MemoryBound: 0
; FloatMode: 240
; IeeeMode: 1
; LDSByteSize: 0 bytes/workgroup (compile time only)
; SGPRBlocks: 0
; VGPRBlocks: 0
; NumSGPRsForWavesPerEU: 32
; NumVGPRsForWavesPerEU: 11
; NamedBarCnt: 0
; Occupancy: 16
; WaveLimiterHint : 0
; COMPUTE_PGM_RSRC2:SCRATCH_EN: 0
; COMPUTE_PGM_RSRC2:USER_SGPR: 2
; COMPUTE_PGM_RSRC2:TRAP_HANDLER: 0
; COMPUTE_PGM_RSRC2:TGID_X_EN: 1
; COMPUTE_PGM_RSRC2:TGID_Y_EN: 1
; COMPUTE_PGM_RSRC2:TGID_Z_EN: 1
; COMPUTE_PGM_RSRC2:TIDIG_COMP_CNT: 1
	.section	.text._ZN9rocsolver6v33100L10ger_kernelI19rocblas_complex_numIfEiS3_PS3_S4_S4_EEvT0_S5_T1_lT2_lS5_lT3_lS5_lT4_lS5_S5_l,"axG",@progbits,_ZN9rocsolver6v33100L10ger_kernelI19rocblas_complex_numIfEiS3_PS3_S4_S4_EEvT0_S5_T1_lT2_lS5_lT3_lS5_lT4_lS5_S5_l,comdat
	.globl	_ZN9rocsolver6v33100L10ger_kernelI19rocblas_complex_numIfEiS3_PS3_S4_S4_EEvT0_S5_T1_lT2_lS5_lT3_lS5_lT4_lS5_S5_l ; -- Begin function _ZN9rocsolver6v33100L10ger_kernelI19rocblas_complex_numIfEiS3_PS3_S4_S4_EEvT0_S5_T1_lT2_lS5_lT3_lS5_lT4_lS5_S5_l
	.p2align	8
	.type	_ZN9rocsolver6v33100L10ger_kernelI19rocblas_complex_numIfEiS3_PS3_S4_S4_EEvT0_S5_T1_lT2_lS5_lT3_lS5_lT4_lS5_S5_l,@function
_ZN9rocsolver6v33100L10ger_kernelI19rocblas_complex_numIfEiS3_PS3_S4_S4_EEvT0_S5_T1_lT2_lS5_lT3_lS5_lT4_lS5_S5_l: ; @_ZN9rocsolver6v33100L10ger_kernelI19rocblas_complex_numIfEiS3_PS3_S4_S4_EEvT0_S5_T1_lT2_lS5_lT3_lS5_lT4_lS5_S5_l
; %bb.0:
	s_clause 0x1
	s_load_b32 s4, s[0:1], 0x84
	s_load_b64 s[2:3], s[0:1], 0x0
	s_bfe_u32 s6, ttmp6, 0x40010
	s_bfe_u32 s9, ttmp6, 0x4000c
	s_and_b32 s5, ttmp7, 0xffff
	s_add_co_i32 s6, s6, 1
	s_add_co_i32 s9, s9, 1
	s_bfe_u32 s7, ttmp6, 0x40004
	s_and_b32 s8, ttmp6, 15
	s_mul_i32 s6, s5, s6
	s_mul_i32 s9, ttmp9, s9
	s_getreg_b32 s23, hwreg(HW_REG_IB_STS2, 6, 4)
	v_and_b32_e32 v1, 0x3ff, v0
	v_bfe_u32 v0, v0, 10, 10
	s_add_co_i32 s7, s7, s6
	s_add_co_i32 s8, s8, s9
	s_wait_kmcnt 0x0
	s_lshr_b32 s6, s4, 16
	s_and_b32 s4, s4, 0xffff
	s_cmp_eq_u32 s23, 0
	s_cselect_b32 s8, ttmp9, s8
	s_cselect_b32 s5, s5, s7
	v_mad_u32 v1, s8, s4, v1
	v_mad_u32 v0, s5, s6, v0
	s_delay_alu instid0(VALU_DEP_2) | instskip(NEXT) | instid1(VALU_DEP_2)
	v_cmp_gt_i32_e32 vcc_lo, s2, v1
	v_cmp_gt_i32_e64 s2, s3, v0
	s_mov_b32 s3, 0
	s_and_b32 s2, vcc_lo, s2
	s_delay_alu instid0(SALU_CYCLE_1)
	s_and_saveexec_b32 s4, s2
	s_cbranch_execz .LBB1_2
; %bb.1:
	s_clause 0x4
	s_load_b32 s2, s[0:1], 0x28
	s_load_b128 s[12:15], s[0:1], 0x30
	s_load_b128 s[16:19], s[0:1], 0x18
	s_load_b96 s[20:22], s[0:1], 0x40
	s_load_b256 s[4:11], s[0:1], 0x50
	s_bfe_u32 s24, ttmp6, 0x40014
	s_lshr_b32 s25, ttmp7, 16
	s_add_co_i32 s24, s24, 1
	s_bfe_u32 s26, ttmp6, 0x40008
	s_mul_i32 s24, s25, s24
	s_delay_alu instid0(SALU_CYCLE_1)
	s_add_co_i32 s26, s26, s24
	s_cmp_eq_u32 s23, 0
	s_wait_kmcnt 0x0
	v_mul_lo_u32 v2, v1, s2
	s_cselect_b32 s2, s25, s26
	s_lshl_b64 s[18:19], s[18:19], 3
	s_mul_u64 s[12:13], s[12:13], s[2:3]
	v_mul_lo_u32 v4, v0, s22
	s_lshl_b64 s[12:13], s[12:13], 3
	s_mul_u64 s[4:5], s[4:5], s[2:3]
	s_add_nc_u64 s[12:13], s[16:17], s[12:13]
	s_load_b64 s[16:17], s[0:1], 0x70
	s_add_nc_u64 s[12:13], s[12:13], s[18:19]
	v_mul_lo_u32 v1, v1, s10
	global_load_b64 v[2:3], v2, s[12:13] scale_offset
	s_lshl_b64 s[4:5], s[4:5], 3
	s_wait_xcnt 0x0
	s_lshl_b64 s[12:13], s[20:21], 3
	s_add_nc_u64 s[4:5], s[14:15], s[4:5]
	s_delay_alu instid0(SALU_CYCLE_1)
	s_add_nc_u64 s[4:5], s[4:5], s[12:13]
	global_load_b64 v[4:5], v4, s[4:5] scale_offset
	s_wait_xcnt 0x0
	s_lshl_b64 s[4:5], s[8:9], 3
	v_mad_u32 v10, v0, s11, v1
	s_wait_kmcnt 0x0
	s_mul_u64 s[2:3], s[16:17], s[2:3]
	s_delay_alu instid0(SALU_CYCLE_1) | instskip(NEXT) | instid1(SALU_CYCLE_1)
	s_lshl_b64 s[2:3], s[2:3], 3
	s_add_nc_u64 s[2:3], s[6:7], s[2:3]
	s_delay_alu instid0(SALU_CYCLE_1)
	s_add_nc_u64 s[2:3], s[2:3], s[4:5]
	s_load_b64 s[4:5], s[0:1], 0x8
	global_load_b64 v[0:1], v10, s[2:3] scale_offset
	s_wait_kmcnt 0x0
	v_mov_b64_e32 v[6:7], s[4:5]
	s_wait_loadcnt 0x2
	s_delay_alu instid0(VALU_DEP_1) | instskip(SKIP_1) | instid1(VALU_DEP_2)
	v_pk_mul_f32 v[8:9], v[6:7], v[2:3] op_sel:[1,0] op_sel_hi:[0,1]
	v_pk_mul_f32 v[2:3], v[6:7], v[2:3]
	v_add_f32_e32 v8, v8, v9
	s_delay_alu instid0(VALU_DEP_2) | instskip(SKIP_1) | instid1(VALU_DEP_2)
	v_pk_add_f32 v[2:3], v[2:3], v[2:3] op_sel:[0,1] op_sel_hi:[0,1] neg_lo:[0,1] neg_hi:[0,1]
	s_wait_loadcnt 0x1
	v_pk_mul_f32 v[6:7], v[4:5], v[8:9] op_sel:[1,0] op_sel_hi:[0,0]
	s_delay_alu instid0(VALU_DEP_1) | instskip(SKIP_1) | instid1(VALU_DEP_2)
	v_pk_fma_f32 v[8:9], v[4:5], v[2:3], v[6:7]
	v_pk_fma_f32 v[2:3], v[4:5], v[2:3], v[6:7] neg_lo:[0,0,1] neg_hi:[0,0,1]
	v_mov_b32_e32 v3, v9
	s_wait_loadcnt 0x0
	s_delay_alu instid0(VALU_DEP_1)
	v_pk_add_f32 v[0:1], v[0:1], v[2:3]
	global_store_b64 v10, v[0:1], s[2:3] scale_offset
.LBB1_2:
	s_endpgm
	.section	.rodata,"a",@progbits
	.p2align	6, 0x0
	.amdhsa_kernel _ZN9rocsolver6v33100L10ger_kernelI19rocblas_complex_numIfEiS3_PS3_S4_S4_EEvT0_S5_T1_lT2_lS5_lT3_lS5_lT4_lS5_S5_l
		.amdhsa_group_segment_fixed_size 0
		.amdhsa_private_segment_fixed_size 0
		.amdhsa_kernarg_size 376
		.amdhsa_user_sgpr_count 2
		.amdhsa_user_sgpr_dispatch_ptr 0
		.amdhsa_user_sgpr_queue_ptr 0
		.amdhsa_user_sgpr_kernarg_segment_ptr 1
		.amdhsa_user_sgpr_dispatch_id 0
		.amdhsa_user_sgpr_kernarg_preload_length 0
		.amdhsa_user_sgpr_kernarg_preload_offset 0
		.amdhsa_user_sgpr_private_segment_size 0
		.amdhsa_wavefront_size32 1
		.amdhsa_uses_dynamic_stack 0
		.amdhsa_enable_private_segment 0
		.amdhsa_system_sgpr_workgroup_id_x 1
		.amdhsa_system_sgpr_workgroup_id_y 1
		.amdhsa_system_sgpr_workgroup_id_z 1
		.amdhsa_system_sgpr_workgroup_info 0
		.amdhsa_system_vgpr_workitem_id 1
		.amdhsa_next_free_vgpr 11
		.amdhsa_next_free_sgpr 27
		.amdhsa_named_barrier_count 0
		.amdhsa_reserve_vcc 1
		.amdhsa_float_round_mode_32 0
		.amdhsa_float_round_mode_16_64 0
		.amdhsa_float_denorm_mode_32 3
		.amdhsa_float_denorm_mode_16_64 3
		.amdhsa_fp16_overflow 0
		.amdhsa_memory_ordered 1
		.amdhsa_forward_progress 1
		.amdhsa_inst_pref_size 5
		.amdhsa_round_robin_scheduling 0
		.amdhsa_exception_fp_ieee_invalid_op 0
		.amdhsa_exception_fp_denorm_src 0
		.amdhsa_exception_fp_ieee_div_zero 0
		.amdhsa_exception_fp_ieee_overflow 0
		.amdhsa_exception_fp_ieee_underflow 0
		.amdhsa_exception_fp_ieee_inexact 0
		.amdhsa_exception_int_div_zero 0
	.end_amdhsa_kernel
	.section	.text._ZN9rocsolver6v33100L10ger_kernelI19rocblas_complex_numIfEiS3_PS3_S4_S4_EEvT0_S5_T1_lT2_lS5_lT3_lS5_lT4_lS5_S5_l,"axG",@progbits,_ZN9rocsolver6v33100L10ger_kernelI19rocblas_complex_numIfEiS3_PS3_S4_S4_EEvT0_S5_T1_lT2_lS5_lT3_lS5_lT4_lS5_S5_l,comdat
.Lfunc_end1:
	.size	_ZN9rocsolver6v33100L10ger_kernelI19rocblas_complex_numIfEiS3_PS3_S4_S4_EEvT0_S5_T1_lT2_lS5_lT3_lS5_lT4_lS5_S5_l, .Lfunc_end1-_ZN9rocsolver6v33100L10ger_kernelI19rocblas_complex_numIfEiS3_PS3_S4_S4_EEvT0_S5_T1_lT2_lS5_lT3_lS5_lT4_lS5_S5_l
                                        ; -- End function
	.set _ZN9rocsolver6v33100L10ger_kernelI19rocblas_complex_numIfEiS3_PS3_S4_S4_EEvT0_S5_T1_lT2_lS5_lT3_lS5_lT4_lS5_S5_l.num_vgpr, 11
	.set _ZN9rocsolver6v33100L10ger_kernelI19rocblas_complex_numIfEiS3_PS3_S4_S4_EEvT0_S5_T1_lT2_lS5_lT3_lS5_lT4_lS5_S5_l.num_agpr, 0
	.set _ZN9rocsolver6v33100L10ger_kernelI19rocblas_complex_numIfEiS3_PS3_S4_S4_EEvT0_S5_T1_lT2_lS5_lT3_lS5_lT4_lS5_S5_l.numbered_sgpr, 27
	.set _ZN9rocsolver6v33100L10ger_kernelI19rocblas_complex_numIfEiS3_PS3_S4_S4_EEvT0_S5_T1_lT2_lS5_lT3_lS5_lT4_lS5_S5_l.num_named_barrier, 0
	.set _ZN9rocsolver6v33100L10ger_kernelI19rocblas_complex_numIfEiS3_PS3_S4_S4_EEvT0_S5_T1_lT2_lS5_lT3_lS5_lT4_lS5_S5_l.private_seg_size, 0
	.set _ZN9rocsolver6v33100L10ger_kernelI19rocblas_complex_numIfEiS3_PS3_S4_S4_EEvT0_S5_T1_lT2_lS5_lT3_lS5_lT4_lS5_S5_l.uses_vcc, 1
	.set _ZN9rocsolver6v33100L10ger_kernelI19rocblas_complex_numIfEiS3_PS3_S4_S4_EEvT0_S5_T1_lT2_lS5_lT3_lS5_lT4_lS5_S5_l.uses_flat_scratch, 0
	.set _ZN9rocsolver6v33100L10ger_kernelI19rocblas_complex_numIfEiS3_PS3_S4_S4_EEvT0_S5_T1_lT2_lS5_lT3_lS5_lT4_lS5_S5_l.has_dyn_sized_stack, 0
	.set _ZN9rocsolver6v33100L10ger_kernelI19rocblas_complex_numIfEiS3_PS3_S4_S4_EEvT0_S5_T1_lT2_lS5_lT3_lS5_lT4_lS5_S5_l.has_recursion, 0
	.set _ZN9rocsolver6v33100L10ger_kernelI19rocblas_complex_numIfEiS3_PS3_S4_S4_EEvT0_S5_T1_lT2_lS5_lT3_lS5_lT4_lS5_S5_l.has_indirect_call, 0
	.section	.AMDGPU.csdata,"",@progbits
; Kernel info:
; codeLenInByte = 556
; TotalNumSgprs: 29
; NumVgprs: 11
; ScratchSize: 0
; MemoryBound: 0
; FloatMode: 240
; IeeeMode: 1
; LDSByteSize: 0 bytes/workgroup (compile time only)
; SGPRBlocks: 0
; VGPRBlocks: 0
; NumSGPRsForWavesPerEU: 29
; NumVGPRsForWavesPerEU: 11
; NamedBarCnt: 0
; Occupancy: 16
; WaveLimiterHint : 1
; COMPUTE_PGM_RSRC2:SCRATCH_EN: 0
; COMPUTE_PGM_RSRC2:USER_SGPR: 2
; COMPUTE_PGM_RSRC2:TRAP_HANDLER: 0
; COMPUTE_PGM_RSRC2:TGID_X_EN: 1
; COMPUTE_PGM_RSRC2:TGID_Y_EN: 1
; COMPUTE_PGM_RSRC2:TGID_Z_EN: 1
; COMPUTE_PGM_RSRC2:TIDIG_COMP_CNT: 1
	.section	.text._ZN9rocsolver6v33100L10ger_kernelI19rocblas_complex_numIfEiPKS3_PKPS3_S8_S8_EEvT0_S9_T1_lT2_lS9_lT3_lS9_lT4_lS9_S9_l,"axG",@progbits,_ZN9rocsolver6v33100L10ger_kernelI19rocblas_complex_numIfEiPKS3_PKPS3_S8_S8_EEvT0_S9_T1_lT2_lS9_lT3_lS9_lT4_lS9_S9_l,comdat
	.globl	_ZN9rocsolver6v33100L10ger_kernelI19rocblas_complex_numIfEiPKS3_PKPS3_S8_S8_EEvT0_S9_T1_lT2_lS9_lT3_lS9_lT4_lS9_S9_l ; -- Begin function _ZN9rocsolver6v33100L10ger_kernelI19rocblas_complex_numIfEiPKS3_PKPS3_S8_S8_EEvT0_S9_T1_lT2_lS9_lT3_lS9_lT4_lS9_S9_l
	.p2align	8
	.type	_ZN9rocsolver6v33100L10ger_kernelI19rocblas_complex_numIfEiPKS3_PKPS3_S8_S8_EEvT0_S9_T1_lT2_lS9_lT3_lS9_lT4_lS9_S9_l,@function
_ZN9rocsolver6v33100L10ger_kernelI19rocblas_complex_numIfEiPKS3_PKPS3_S8_S8_EEvT0_S9_T1_lT2_lS9_lT3_lS9_lT4_lS9_S9_l: ; @_ZN9rocsolver6v33100L10ger_kernelI19rocblas_complex_numIfEiPKS3_PKPS3_S8_S8_EEvT0_S9_T1_lT2_lS9_lT3_lS9_lT4_lS9_S9_l
; %bb.0:
	s_clause 0x1
	s_load_b32 s2, s[0:1], 0x84
	s_load_b64 s[4:5], s[0:1], 0x0
	s_bfe_u32 s7, ttmp6, 0x40010
	s_bfe_u32 s10, ttmp6, 0x4000c
	s_and_b32 s6, ttmp7, 0xffff
	s_add_co_i32 s7, s7, 1
	s_add_co_i32 s10, s10, 1
	s_bfe_u32 s8, ttmp6, 0x40004
	s_and_b32 s9, ttmp6, 15
	s_mul_i32 s7, s6, s7
	s_mul_i32 s10, ttmp9, s10
	s_getreg_b32 s3, hwreg(HW_REG_IB_STS2, 6, 4)
	v_and_b32_e32 v1, 0x3ff, v0
	v_bfe_u32 v0, v0, 10, 10
	s_add_co_i32 s8, s8, s7
	s_add_co_i32 s9, s9, s10
	s_wait_kmcnt 0x0
	s_lshr_b32 s7, s2, 16
	s_and_b32 s2, s2, 0xffff
	s_cmp_eq_u32 s3, 0
	s_cselect_b32 s9, ttmp9, s9
	s_cselect_b32 s6, s6, s8
	v_mad_u32 v1, s9, s2, v1
	v_mad_u32 v0, s6, s7, v0
	s_delay_alu instid0(VALU_DEP_2) | instskip(NEXT) | instid1(VALU_DEP_2)
	v_cmp_gt_i32_e32 vcc_lo, s4, v1
	v_cmp_gt_i32_e64 s2, s5, v0
	s_and_b32 s2, vcc_lo, s2
	s_delay_alu instid0(SALU_CYCLE_1)
	s_and_saveexec_b32 s4, s2
	s_cbranch_execz .LBB2_2
; %bb.1:
	s_load_b256 s[4:11], s[0:1], 0x8
	s_wait_kmcnt 0x0
	s_clause 0x1
	s_load_b32 s7, s[0:1], 0x28
	s_load_b128 s[12:15], s[0:1], 0x38
	s_bfe_u32 s2, ttmp6, 0x40014
	s_lshr_b32 s16, ttmp7, 16
	s_add_co_i32 s2, s2, 1
	s_bfe_u32 s17, ttmp6, 0x40008
	s_mul_i32 s2, s16, s2
	s_delay_alu instid0(SALU_CYCLE_1)
	s_add_co_i32 s17, s17, s2
	s_cmp_eq_u32 s3, 0
	s_cselect_b32 s24, s16, s17
	s_load_b64 s[2:3], s[8:9], s24 offset:0x0 scale_offset
	s_clause 0x2
	s_load_b32 s25, s[0:1], 0x48
	s_load_b128 s[16:19], s[0:1], 0x58
	s_load_b64 s[20:21], s[0:1], 0x68
	s_wait_kmcnt 0x0
	s_load_b64 s[22:23], s[12:13], s24 offset:0x0 scale_offset
	v_mul_lo_u32 v2, v1, s7
	s_lshl_b64 s[0:1], s[10:11], 3
	s_delay_alu instid0(SALU_CYCLE_1)
	s_add_nc_u64 s[0:1], s[2:3], s[0:1]
	v_mul_lo_u32 v4, v0, s25
	flat_load_b64 v[2:3], v2, s[0:1] scale_offset
	s_wait_xcnt 0x0
	s_load_b64 s[0:1], s[16:17], s24 offset:0x0 scale_offset
	v_mul_lo_u32 v1, v1, s20
	s_lshl_b64 s[2:3], s[14:15], 3
	s_wait_kmcnt 0x0
	s_add_nc_u64 s[2:3], s[22:23], s[2:3]
	flat_load_b64 v[4:5], v4, s[2:3] scale_offset
	s_wait_xcnt 0x0
	s_lshl_b64 s[2:3], s[18:19], 3
	v_mad_u32 v10, v0, s21, v1
	s_add_nc_u64 s[0:1], s[0:1], s[2:3]
	s_mul_i32 s2, s24, s6
	flat_load_b64 v[0:1], v10, s[0:1] scale_offset
	s_ashr_i32 s3, s2, 31
	s_delay_alu instid0(SALU_CYCLE_1) | instskip(NEXT) | instid1(SALU_CYCLE_1)
	s_lshl_b64 s[2:3], s[2:3], 3
	s_add_nc_u64 s[2:3], s[4:5], s[2:3]
	s_load_b64 s[4:5], s[2:3], 0x0
	s_wait_kmcnt 0x0
	v_mov_b64_e32 v[6:7], s[4:5]
	s_wait_loadcnt_dscnt 0x202
	s_delay_alu instid0(VALU_DEP_1) | instskip(SKIP_1) | instid1(VALU_DEP_2)
	v_pk_mul_f32 v[8:9], v[6:7], v[2:3] op_sel:[1,0] op_sel_hi:[0,1]
	v_pk_mul_f32 v[2:3], v[6:7], v[2:3]
	v_add_f32_e32 v8, v8, v9
	s_delay_alu instid0(VALU_DEP_2) | instskip(SKIP_1) | instid1(VALU_DEP_2)
	v_pk_add_f32 v[2:3], v[2:3], v[2:3] op_sel:[0,1] op_sel_hi:[0,1] neg_lo:[0,1] neg_hi:[0,1]
	s_wait_loadcnt_dscnt 0x101
	v_pk_mul_f32 v[6:7], v[4:5], v[8:9] op_sel:[1,0] op_sel_hi:[0,0]
	s_delay_alu instid0(VALU_DEP_1) | instskip(SKIP_1) | instid1(VALU_DEP_2)
	v_pk_fma_f32 v[8:9], v[4:5], v[2:3], v[6:7]
	v_pk_fma_f32 v[2:3], v[4:5], v[2:3], v[6:7] neg_lo:[0,0,1] neg_hi:[0,0,1]
	v_mov_b32_e32 v3, v9
	s_wait_loadcnt_dscnt 0x0
	s_delay_alu instid0(VALU_DEP_1)
	v_pk_add_f32 v[0:1], v[0:1], v[2:3]
	flat_store_b64 v10, v[0:1], s[0:1] scale_offset
.LBB2_2:
	s_endpgm
	.section	.rodata,"a",@progbits
	.p2align	6, 0x0
	.amdhsa_kernel _ZN9rocsolver6v33100L10ger_kernelI19rocblas_complex_numIfEiPKS3_PKPS3_S8_S8_EEvT0_S9_T1_lT2_lS9_lT3_lS9_lT4_lS9_S9_l
		.amdhsa_group_segment_fixed_size 0
		.amdhsa_private_segment_fixed_size 0
		.amdhsa_kernarg_size 376
		.amdhsa_user_sgpr_count 2
		.amdhsa_user_sgpr_dispatch_ptr 0
		.amdhsa_user_sgpr_queue_ptr 0
		.amdhsa_user_sgpr_kernarg_segment_ptr 1
		.amdhsa_user_sgpr_dispatch_id 0
		.amdhsa_user_sgpr_kernarg_preload_length 0
		.amdhsa_user_sgpr_kernarg_preload_offset 0
		.amdhsa_user_sgpr_private_segment_size 0
		.amdhsa_wavefront_size32 1
		.amdhsa_uses_dynamic_stack 0
		.amdhsa_enable_private_segment 0
		.amdhsa_system_sgpr_workgroup_id_x 1
		.amdhsa_system_sgpr_workgroup_id_y 1
		.amdhsa_system_sgpr_workgroup_id_z 1
		.amdhsa_system_sgpr_workgroup_info 0
		.amdhsa_system_vgpr_workitem_id 1
		.amdhsa_next_free_vgpr 11
		.amdhsa_next_free_sgpr 26
		.amdhsa_named_barrier_count 0
		.amdhsa_reserve_vcc 1
		.amdhsa_float_round_mode_32 0
		.amdhsa_float_round_mode_16_64 0
		.amdhsa_float_denorm_mode_32 3
		.amdhsa_float_denorm_mode_16_64 3
		.amdhsa_fp16_overflow 0
		.amdhsa_memory_ordered 1
		.amdhsa_forward_progress 1
		.amdhsa_inst_pref_size 5
		.amdhsa_round_robin_scheduling 0
		.amdhsa_exception_fp_ieee_invalid_op 0
		.amdhsa_exception_fp_denorm_src 0
		.amdhsa_exception_fp_ieee_div_zero 0
		.amdhsa_exception_fp_ieee_overflow 0
		.amdhsa_exception_fp_ieee_underflow 0
		.amdhsa_exception_fp_ieee_inexact 0
		.amdhsa_exception_int_div_zero 0
	.end_amdhsa_kernel
	.section	.text._ZN9rocsolver6v33100L10ger_kernelI19rocblas_complex_numIfEiPKS3_PKPS3_S8_S8_EEvT0_S9_T1_lT2_lS9_lT3_lS9_lT4_lS9_S9_l,"axG",@progbits,_ZN9rocsolver6v33100L10ger_kernelI19rocblas_complex_numIfEiPKS3_PKPS3_S8_S8_EEvT0_S9_T1_lT2_lS9_lT3_lS9_lT4_lS9_S9_l,comdat
.Lfunc_end2:
	.size	_ZN9rocsolver6v33100L10ger_kernelI19rocblas_complex_numIfEiPKS3_PKPS3_S8_S8_EEvT0_S9_T1_lT2_lS9_lT3_lS9_lT4_lS9_S9_l, .Lfunc_end2-_ZN9rocsolver6v33100L10ger_kernelI19rocblas_complex_numIfEiPKS3_PKPS3_S8_S8_EEvT0_S9_T1_lT2_lS9_lT3_lS9_lT4_lS9_S9_l
                                        ; -- End function
	.set _ZN9rocsolver6v33100L10ger_kernelI19rocblas_complex_numIfEiPKS3_PKPS3_S8_S8_EEvT0_S9_T1_lT2_lS9_lT3_lS9_lT4_lS9_S9_l.num_vgpr, 11
	.set _ZN9rocsolver6v33100L10ger_kernelI19rocblas_complex_numIfEiPKS3_PKPS3_S8_S8_EEvT0_S9_T1_lT2_lS9_lT3_lS9_lT4_lS9_S9_l.num_agpr, 0
	.set _ZN9rocsolver6v33100L10ger_kernelI19rocblas_complex_numIfEiPKS3_PKPS3_S8_S8_EEvT0_S9_T1_lT2_lS9_lT3_lS9_lT4_lS9_S9_l.numbered_sgpr, 26
	.set _ZN9rocsolver6v33100L10ger_kernelI19rocblas_complex_numIfEiPKS3_PKPS3_S8_S8_EEvT0_S9_T1_lT2_lS9_lT3_lS9_lT4_lS9_S9_l.num_named_barrier, 0
	.set _ZN9rocsolver6v33100L10ger_kernelI19rocblas_complex_numIfEiPKS3_PKPS3_S8_S8_EEvT0_S9_T1_lT2_lS9_lT3_lS9_lT4_lS9_S9_l.private_seg_size, 0
	.set _ZN9rocsolver6v33100L10ger_kernelI19rocblas_complex_numIfEiPKS3_PKPS3_S8_S8_EEvT0_S9_T1_lT2_lS9_lT3_lS9_lT4_lS9_S9_l.uses_vcc, 1
	.set _ZN9rocsolver6v33100L10ger_kernelI19rocblas_complex_numIfEiPKS3_PKPS3_S8_S8_EEvT0_S9_T1_lT2_lS9_lT3_lS9_lT4_lS9_S9_l.uses_flat_scratch, 0
	.set _ZN9rocsolver6v33100L10ger_kernelI19rocblas_complex_numIfEiPKS3_PKPS3_S8_S8_EEvT0_S9_T1_lT2_lS9_lT3_lS9_lT4_lS9_S9_l.has_dyn_sized_stack, 0
	.set _ZN9rocsolver6v33100L10ger_kernelI19rocblas_complex_numIfEiPKS3_PKPS3_S8_S8_EEvT0_S9_T1_lT2_lS9_lT3_lS9_lT4_lS9_S9_l.has_recursion, 0
	.set _ZN9rocsolver6v33100L10ger_kernelI19rocblas_complex_numIfEiPKS3_PKPS3_S8_S8_EEvT0_S9_T1_lT2_lS9_lT3_lS9_lT4_lS9_S9_l.has_indirect_call, 0
	.section	.AMDGPU.csdata,"",@progbits
; Kernel info:
; codeLenInByte = 560
; TotalNumSgprs: 28
; NumVgprs: 11
; ScratchSize: 0
; MemoryBound: 0
; FloatMode: 240
; IeeeMode: 1
; LDSByteSize: 0 bytes/workgroup (compile time only)
; SGPRBlocks: 0
; VGPRBlocks: 0
; NumSGPRsForWavesPerEU: 28
; NumVGPRsForWavesPerEU: 11
; NamedBarCnt: 0
; Occupancy: 16
; WaveLimiterHint : 1
; COMPUTE_PGM_RSRC2:SCRATCH_EN: 0
; COMPUTE_PGM_RSRC2:USER_SGPR: 2
; COMPUTE_PGM_RSRC2:TRAP_HANDLER: 0
; COMPUTE_PGM_RSRC2:TGID_X_EN: 1
; COMPUTE_PGM_RSRC2:TGID_Y_EN: 1
; COMPUTE_PGM_RSRC2:TGID_Z_EN: 1
; COMPUTE_PGM_RSRC2:TIDIG_COMP_CNT: 1
	.section	.text._ZN9rocsolver6v33100L10ger_kernelI19rocblas_complex_numIfEiS3_PKPS3_S6_S6_EEvT0_S7_T1_lT2_lS7_lT3_lS7_lT4_lS7_S7_l,"axG",@progbits,_ZN9rocsolver6v33100L10ger_kernelI19rocblas_complex_numIfEiS3_PKPS3_S6_S6_EEvT0_S7_T1_lT2_lS7_lT3_lS7_lT4_lS7_S7_l,comdat
	.globl	_ZN9rocsolver6v33100L10ger_kernelI19rocblas_complex_numIfEiS3_PKPS3_S6_S6_EEvT0_S7_T1_lT2_lS7_lT3_lS7_lT4_lS7_S7_l ; -- Begin function _ZN9rocsolver6v33100L10ger_kernelI19rocblas_complex_numIfEiS3_PKPS3_S6_S6_EEvT0_S7_T1_lT2_lS7_lT3_lS7_lT4_lS7_S7_l
	.p2align	8
	.type	_ZN9rocsolver6v33100L10ger_kernelI19rocblas_complex_numIfEiS3_PKPS3_S6_S6_EEvT0_S7_T1_lT2_lS7_lT3_lS7_lT4_lS7_S7_l,@function
_ZN9rocsolver6v33100L10ger_kernelI19rocblas_complex_numIfEiS3_PKPS3_S6_S6_EEvT0_S7_T1_lT2_lS7_lT3_lS7_lT4_lS7_S7_l: ; @_ZN9rocsolver6v33100L10ger_kernelI19rocblas_complex_numIfEiS3_PKPS3_S6_S6_EEvT0_S7_T1_lT2_lS7_lT3_lS7_lT4_lS7_S7_l
; %bb.0:
	s_clause 0x1
	s_load_b32 s2, s[0:1], 0x84
	s_load_b64 s[4:5], s[0:1], 0x0
	s_bfe_u32 s7, ttmp6, 0x40010
	s_bfe_u32 s10, ttmp6, 0x4000c
	s_and_b32 s6, ttmp7, 0xffff
	s_add_co_i32 s7, s7, 1
	s_add_co_i32 s10, s10, 1
	s_bfe_u32 s8, ttmp6, 0x40004
	s_and_b32 s9, ttmp6, 15
	s_mul_i32 s7, s6, s7
	s_mul_i32 s10, ttmp9, s10
	s_getreg_b32 s3, hwreg(HW_REG_IB_STS2, 6, 4)
	v_and_b32_e32 v1, 0x3ff, v0
	v_bfe_u32 v0, v0, 10, 10
	s_add_co_i32 s8, s8, s7
	s_add_co_i32 s9, s9, s10
	s_wait_kmcnt 0x0
	s_lshr_b32 s7, s2, 16
	s_and_b32 s2, s2, 0xffff
	s_cmp_eq_u32 s3, 0
	s_cselect_b32 s9, ttmp9, s9
	s_cselect_b32 s6, s6, s8
	v_mad_u32 v1, s9, s2, v1
	v_mad_u32 v0, s6, s7, v0
	s_delay_alu instid0(VALU_DEP_2) | instskip(NEXT) | instid1(VALU_DEP_2)
	v_cmp_gt_i32_e32 vcc_lo, s4, v1
	v_cmp_gt_i32_e64 s2, s5, v0
	s_and_b32 s2, vcc_lo, s2
	s_delay_alu instid0(SALU_CYCLE_1)
	s_and_saveexec_b32 s4, s2
	s_cbranch_execz .LBB3_2
; %bb.1:
	s_clause 0x2
	s_load_b128 s[8:11], s[0:1], 0x18
	s_load_b32 s20, s[0:1], 0x28
	s_load_b128 s[4:7], s[0:1], 0x38
	s_bfe_u32 s2, ttmp6, 0x40014
	s_lshr_b32 s12, ttmp7, 16
	s_add_co_i32 s2, s2, 1
	s_bfe_u32 s13, ttmp6, 0x40008
	s_mul_i32 s2, s12, s2
	s_delay_alu instid0(SALU_CYCLE_1)
	s_add_co_i32 s13, s13, s2
	s_cmp_eq_u32 s3, 0
	s_cselect_b32 s21, s12, s13
	s_wait_kmcnt 0x0
	s_load_b64 s[2:3], s[8:9], s21 offset:0x0 scale_offset
	s_clause 0x2
	s_load_b32 s22, s[0:1], 0x48
	s_load_b128 s[12:15], s[0:1], 0x58
	s_load_b64 s[16:17], s[0:1], 0x68
	s_load_b64 s[18:19], s[4:5], s21 offset:0x0 scale_offset
	v_mul_lo_u32 v2, v1, s20
	s_wait_xcnt 0x0
	s_lshl_b64 s[4:5], s[10:11], 3
	s_wait_kmcnt 0x0
	s_add_nc_u64 s[2:3], s[2:3], s[4:5]
	v_mul_lo_u32 v4, v0, s22
	flat_load_b64 v[2:3], v2, s[2:3] scale_offset
	s_wait_xcnt 0x0
	s_load_b64 s[2:3], s[12:13], s21 offset:0x0 scale_offset
	v_mul_lo_u32 v1, v1, s16
	s_lshl_b64 s[4:5], s[6:7], 3
	s_delay_alu instid0(SALU_CYCLE_1)
	s_add_nc_u64 s[4:5], s[18:19], s[4:5]
	flat_load_b64 v[4:5], v4, s[4:5] scale_offset
	s_wait_xcnt 0x0
	s_lshl_b64 s[4:5], s[14:15], 3
	v_mad_u32 v10, v0, s17, v1
	s_wait_kmcnt 0x0
	s_add_nc_u64 s[2:3], s[2:3], s[4:5]
	s_load_b64 s[4:5], s[0:1], 0x8
	flat_load_b64 v[0:1], v10, s[2:3] scale_offset
	s_wait_kmcnt 0x0
	v_mov_b64_e32 v[6:7], s[4:5]
	s_wait_loadcnt_dscnt 0x202
	s_delay_alu instid0(VALU_DEP_1) | instskip(SKIP_1) | instid1(VALU_DEP_2)
	v_pk_mul_f32 v[8:9], v[6:7], v[2:3] op_sel:[1,0] op_sel_hi:[0,1]
	v_pk_mul_f32 v[2:3], v[6:7], v[2:3]
	v_add_f32_e32 v8, v8, v9
	s_delay_alu instid0(VALU_DEP_2) | instskip(SKIP_1) | instid1(VALU_DEP_2)
	v_pk_add_f32 v[2:3], v[2:3], v[2:3] op_sel:[0,1] op_sel_hi:[0,1] neg_lo:[0,1] neg_hi:[0,1]
	s_wait_loadcnt_dscnt 0x101
	v_pk_mul_f32 v[6:7], v[4:5], v[8:9] op_sel:[1,0] op_sel_hi:[0,0]
	s_delay_alu instid0(VALU_DEP_1) | instskip(SKIP_1) | instid1(VALU_DEP_2)
	v_pk_fma_f32 v[8:9], v[4:5], v[2:3], v[6:7]
	v_pk_fma_f32 v[2:3], v[4:5], v[2:3], v[6:7] neg_lo:[0,0,1] neg_hi:[0,0,1]
	v_mov_b32_e32 v3, v9
	s_wait_loadcnt_dscnt 0x0
	s_delay_alu instid0(VALU_DEP_1)
	v_pk_add_f32 v[0:1], v[0:1], v[2:3]
	flat_store_b64 v10, v[0:1], s[2:3] scale_offset
.LBB3_2:
	s_endpgm
	.section	.rodata,"a",@progbits
	.p2align	6, 0x0
	.amdhsa_kernel _ZN9rocsolver6v33100L10ger_kernelI19rocblas_complex_numIfEiS3_PKPS3_S6_S6_EEvT0_S7_T1_lT2_lS7_lT3_lS7_lT4_lS7_S7_l
		.amdhsa_group_segment_fixed_size 0
		.amdhsa_private_segment_fixed_size 0
		.amdhsa_kernarg_size 376
		.amdhsa_user_sgpr_count 2
		.amdhsa_user_sgpr_dispatch_ptr 0
		.amdhsa_user_sgpr_queue_ptr 0
		.amdhsa_user_sgpr_kernarg_segment_ptr 1
		.amdhsa_user_sgpr_dispatch_id 0
		.amdhsa_user_sgpr_kernarg_preload_length 0
		.amdhsa_user_sgpr_kernarg_preload_offset 0
		.amdhsa_user_sgpr_private_segment_size 0
		.amdhsa_wavefront_size32 1
		.amdhsa_uses_dynamic_stack 0
		.amdhsa_enable_private_segment 0
		.amdhsa_system_sgpr_workgroup_id_x 1
		.amdhsa_system_sgpr_workgroup_id_y 1
		.amdhsa_system_sgpr_workgroup_id_z 1
		.amdhsa_system_sgpr_workgroup_info 0
		.amdhsa_system_vgpr_workitem_id 1
		.amdhsa_next_free_vgpr 11
		.amdhsa_next_free_sgpr 23
		.amdhsa_named_barrier_count 0
		.amdhsa_reserve_vcc 1
		.amdhsa_float_round_mode_32 0
		.amdhsa_float_round_mode_16_64 0
		.amdhsa_float_denorm_mode_32 3
		.amdhsa_float_denorm_mode_16_64 3
		.amdhsa_fp16_overflow 0
		.amdhsa_memory_ordered 1
		.amdhsa_forward_progress 1
		.amdhsa_inst_pref_size 5
		.amdhsa_round_robin_scheduling 0
		.amdhsa_exception_fp_ieee_invalid_op 0
		.amdhsa_exception_fp_denorm_src 0
		.amdhsa_exception_fp_ieee_div_zero 0
		.amdhsa_exception_fp_ieee_overflow 0
		.amdhsa_exception_fp_ieee_underflow 0
		.amdhsa_exception_fp_ieee_inexact 0
		.amdhsa_exception_int_div_zero 0
	.end_amdhsa_kernel
	.section	.text._ZN9rocsolver6v33100L10ger_kernelI19rocblas_complex_numIfEiS3_PKPS3_S6_S6_EEvT0_S7_T1_lT2_lS7_lT3_lS7_lT4_lS7_S7_l,"axG",@progbits,_ZN9rocsolver6v33100L10ger_kernelI19rocblas_complex_numIfEiS3_PKPS3_S6_S6_EEvT0_S7_T1_lT2_lS7_lT3_lS7_lT4_lS7_S7_l,comdat
.Lfunc_end3:
	.size	_ZN9rocsolver6v33100L10ger_kernelI19rocblas_complex_numIfEiS3_PKPS3_S6_S6_EEvT0_S7_T1_lT2_lS7_lT3_lS7_lT4_lS7_S7_l, .Lfunc_end3-_ZN9rocsolver6v33100L10ger_kernelI19rocblas_complex_numIfEiS3_PKPS3_S6_S6_EEvT0_S7_T1_lT2_lS7_lT3_lS7_lT4_lS7_S7_l
                                        ; -- End function
	.set _ZN9rocsolver6v33100L10ger_kernelI19rocblas_complex_numIfEiS3_PKPS3_S6_S6_EEvT0_S7_T1_lT2_lS7_lT3_lS7_lT4_lS7_S7_l.num_vgpr, 11
	.set _ZN9rocsolver6v33100L10ger_kernelI19rocblas_complex_numIfEiS3_PKPS3_S6_S6_EEvT0_S7_T1_lT2_lS7_lT3_lS7_lT4_lS7_S7_l.num_agpr, 0
	.set _ZN9rocsolver6v33100L10ger_kernelI19rocblas_complex_numIfEiS3_PKPS3_S6_S6_EEvT0_S7_T1_lT2_lS7_lT3_lS7_lT4_lS7_S7_l.numbered_sgpr, 23
	.set _ZN9rocsolver6v33100L10ger_kernelI19rocblas_complex_numIfEiS3_PKPS3_S6_S6_EEvT0_S7_T1_lT2_lS7_lT3_lS7_lT4_lS7_S7_l.num_named_barrier, 0
	.set _ZN9rocsolver6v33100L10ger_kernelI19rocblas_complex_numIfEiS3_PKPS3_S6_S6_EEvT0_S7_T1_lT2_lS7_lT3_lS7_lT4_lS7_S7_l.private_seg_size, 0
	.set _ZN9rocsolver6v33100L10ger_kernelI19rocblas_complex_numIfEiS3_PKPS3_S6_S6_EEvT0_S7_T1_lT2_lS7_lT3_lS7_lT4_lS7_S7_l.uses_vcc, 1
	.set _ZN9rocsolver6v33100L10ger_kernelI19rocblas_complex_numIfEiS3_PKPS3_S6_S6_EEvT0_S7_T1_lT2_lS7_lT3_lS7_lT4_lS7_S7_l.uses_flat_scratch, 0
	.set _ZN9rocsolver6v33100L10ger_kernelI19rocblas_complex_numIfEiS3_PKPS3_S6_S6_EEvT0_S7_T1_lT2_lS7_lT3_lS7_lT4_lS7_S7_l.has_dyn_sized_stack, 0
	.set _ZN9rocsolver6v33100L10ger_kernelI19rocblas_complex_numIfEiS3_PKPS3_S6_S6_EEvT0_S7_T1_lT2_lS7_lT3_lS7_lT4_lS7_S7_l.has_recursion, 0
	.set _ZN9rocsolver6v33100L10ger_kernelI19rocblas_complex_numIfEiS3_PKPS3_S6_S6_EEvT0_S7_T1_lT2_lS7_lT3_lS7_lT4_lS7_S7_l.has_indirect_call, 0
	.section	.AMDGPU.csdata,"",@progbits
; Kernel info:
; codeLenInByte = 544
; TotalNumSgprs: 25
; NumVgprs: 11
; ScratchSize: 0
; MemoryBound: 0
; FloatMode: 240
; IeeeMode: 1
; LDSByteSize: 0 bytes/workgroup (compile time only)
; SGPRBlocks: 0
; VGPRBlocks: 0
; NumSGPRsForWavesPerEU: 25
; NumVGPRsForWavesPerEU: 11
; NamedBarCnt: 0
; Occupancy: 16
; WaveLimiterHint : 1
; COMPUTE_PGM_RSRC2:SCRATCH_EN: 0
; COMPUTE_PGM_RSRC2:USER_SGPR: 2
; COMPUTE_PGM_RSRC2:TRAP_HANDLER: 0
; COMPUTE_PGM_RSRC2:TGID_X_EN: 1
; COMPUTE_PGM_RSRC2:TGID_Y_EN: 1
; COMPUTE_PGM_RSRC2:TGID_Z_EN: 1
; COMPUTE_PGM_RSRC2:TIDIG_COMP_CNT: 1
	.section	.text._ZN9rocsolver6v33100L10ger_kernelI19rocblas_complex_numIfElPKS3_PS3_S6_S6_EEvT0_S7_T1_lT2_lS7_lT3_lS7_lT4_lS7_S7_l,"axG",@progbits,_ZN9rocsolver6v33100L10ger_kernelI19rocblas_complex_numIfElPKS3_PS3_S6_S6_EEvT0_S7_T1_lT2_lS7_lT3_lS7_lT4_lS7_S7_l,comdat
	.globl	_ZN9rocsolver6v33100L10ger_kernelI19rocblas_complex_numIfElPKS3_PS3_S6_S6_EEvT0_S7_T1_lT2_lS7_lT3_lS7_lT4_lS7_S7_l ; -- Begin function _ZN9rocsolver6v33100L10ger_kernelI19rocblas_complex_numIfElPKS3_PS3_S6_S6_EEvT0_S7_T1_lT2_lS7_lT3_lS7_lT4_lS7_S7_l
	.p2align	8
	.type	_ZN9rocsolver6v33100L10ger_kernelI19rocblas_complex_numIfElPKS3_PS3_S6_S6_EEvT0_S7_T1_lT2_lS7_lT3_lS7_lT4_lS7_S7_l,@function
_ZN9rocsolver6v33100L10ger_kernelI19rocblas_complex_numIfElPKS3_PS3_S6_S6_EEvT0_S7_T1_lT2_lS7_lT3_lS7_lT4_lS7_S7_l: ; @_ZN9rocsolver6v33100L10ger_kernelI19rocblas_complex_numIfElPKS3_PS3_S6_S6_EEvT0_S7_T1_lT2_lS7_lT3_lS7_lT4_lS7_S7_l
; %bb.0:
	s_load_b32 s2, s[0:1], 0x94
	s_bfe_u32 s21, ttmp6, 0x40010
	s_bfe_u32 s24, ttmp6, 0x4000c
	s_and_b32 s3, ttmp7, 0xffff
	s_add_co_i32 s21, s21, 1
	s_add_co_i32 s24, s24, 1
	s_load_b512 s[4:19], s[0:1], 0x0
	s_bfe_u32 s22, ttmp6, 0x40004
	s_and_b32 s23, ttmp6, 15
	s_wait_kmcnt 0x0
	s_mul_i32 s11, s3, s21
	s_mul_i32 s21, ttmp9, s24
	s_getreg_b32 s20, hwreg(HW_REG_IB_STS2, 6, 4)
	v_mov_b32_e32 v5, 0
	v_and_b32_e32 v4, 0x3ff, v0
	s_add_co_i32 s22, s22, s11
	s_add_co_i32 s23, s23, s21
	s_lshr_b32 s11, s2, 16
	s_and_b32 s2, s2, 0xffff
	s_cmp_eq_u32 s20, 0
	s_cselect_b32 s21, ttmp9, s23
	s_delay_alu instid0(SALU_CYCLE_1) | instskip(SKIP_3) | instid1(VALU_DEP_1)
	v_mad_nc_u64_u32 v[2:3], s2, s21, v[4:5]
	v_bfe_u32 v4, v0, 10, 10
	s_cselect_b32 s2, s3, s22
	s_mov_b32 s3, 0
	v_mad_nc_u64_u32 v[0:1], s11, s2, v[4:5]
	s_delay_alu instid0(VALU_DEP_3) | instskip(NEXT) | instid1(VALU_DEP_2)
	v_cmp_gt_i64_e32 vcc_lo, s[4:5], v[2:3]
	v_cmp_gt_i64_e64 s2, s[6:7], v[0:1]
	s_and_b32 s2, vcc_lo, s2
	s_delay_alu instid0(SALU_CYCLE_1)
	s_and_saveexec_b32 s4, s2
	s_cbranch_execz .LBB4_2
; %bb.1:
	s_load_b512 s[36:51], s[0:1], 0x40
	v_mul_u64_e32 v[4:5], s[16:17], v[2:3]
	s_bfe_u32 s2, ttmp6, 0x40014
	s_lshr_b32 s4, ttmp7, 16
	s_add_co_i32 s2, s2, 1
	s_bfe_u32 s5, ttmp6, 0x40008
	s_mul_i32 s2, s4, s2
	s_wait_xcnt 0x0
	s_load_b64 s[0:1], s[0:1], 0x80
	s_add_co_i32 s5, s5, s2
	s_cmp_eq_u32 s20, 0
	s_cselect_b32 s2, s4, s5
	s_lshl_b64 s[6:7], s[14:15], 3
	s_mul_u64 s[4:5], s[18:19], s[2:3]
	s_delay_alu instid0(SALU_CYCLE_1) | instskip(NEXT) | instid1(SALU_CYCLE_1)
	s_lshl_b64 s[4:5], s[4:5], 3
	s_add_nc_u64 s[4:5], s[12:13], s[4:5]
	s_delay_alu instid0(SALU_CYCLE_1)
	s_add_nc_u64 s[4:5], s[4:5], s[6:7]
	s_wait_kmcnt 0x0
	v_mul_u64_e32 v[6:7], s[40:41], v[0:1]
	v_mul_u64_e32 v[2:3], s[48:49], v[2:3]
	;; [unrolled: 1-line block ×3, first 2 shown]
	s_lshl_b64 s[6:7], s[38:39], 3
	s_mul_u64 s[0:1], s[0:1], s[2:3]
	s_delay_alu instid0(SALU_CYCLE_1) | instskip(NEXT) | instid1(SALU_CYCLE_1)
	s_lshl_b64 s[0:1], s[0:1], 3
	s_add_nc_u64 s[0:1], s[44:45], s[0:1]
	s_delay_alu instid0(VALU_DEP_4) | instskip(SKIP_1) | instid1(SALU_CYCLE_1)
	v_lshl_add_u64 v[4:5], v[4:5], 3, s[4:5]
	s_mul_u64 s[4:5], s[42:43], s[2:3]
	s_lshl_b64 s[4:5], s[4:5], 3
	global_load_b64 v[4:5], v[4:5], off
	s_add_nc_u64 s[4:5], s[36:37], s[4:5]
	s_delay_alu instid0(SALU_CYCLE_1) | instskip(NEXT) | instid1(SALU_CYCLE_1)
	s_add_nc_u64 s[4:5], s[4:5], s[6:7]
	v_lshl_add_u64 v[6:7], v[6:7], 3, s[4:5]
	s_lshl_b64 s[4:5], s[46:47], 3
	s_delay_alu instid0(SALU_CYCLE_1) | instskip(NEXT) | instid1(SALU_CYCLE_1)
	s_add_nc_u64 s[0:1], s[0:1], s[4:5]
	v_lshl_add_u64 v[2:3], v[2:3], 3, s[0:1]
	global_load_b64 v[6:7], v[6:7], off
	s_mul_i32 s0, s2, s10
	s_delay_alu instid0(SALU_CYCLE_1) | instskip(SKIP_2) | instid1(SALU_CYCLE_1)
	s_ashr_i32 s1, s0, 31
	v_lshl_add_u64 v[0:1], v[0:1], 3, v[2:3]
	s_lshl_b64 s[0:1], s[0:1], 3
	s_add_nc_u64 s[0:1], s[8:9], s[0:1]
	global_load_b64 v[2:3], v[0:1], off
	s_load_b64 s[2:3], s[0:1], 0x0
	s_wait_kmcnt 0x0
	v_mov_b64_e32 v[8:9], s[2:3]
	s_wait_loadcnt 0x2
	s_delay_alu instid0(VALU_DEP_1) | instskip(SKIP_1) | instid1(VALU_DEP_2)
	v_pk_mul_f32 v[10:11], v[8:9], v[4:5] op_sel:[1,0] op_sel_hi:[0,1]
	v_pk_mul_f32 v[4:5], v[8:9], v[4:5]
	v_add_f32_e32 v10, v10, v11
	s_delay_alu instid0(VALU_DEP_2) | instskip(SKIP_1) | instid1(VALU_DEP_2)
	v_pk_add_f32 v[4:5], v[4:5], v[4:5] op_sel:[0,1] op_sel_hi:[0,1] neg_lo:[0,1] neg_hi:[0,1]
	s_wait_loadcnt 0x1
	v_pk_mul_f32 v[8:9], v[6:7], v[10:11] op_sel:[1,0] op_sel_hi:[0,0]
	s_delay_alu instid0(VALU_DEP_1) | instskip(SKIP_1) | instid1(VALU_DEP_2)
	v_pk_fma_f32 v[10:11], v[6:7], v[4:5], v[8:9]
	v_pk_fma_f32 v[4:5], v[6:7], v[4:5], v[8:9] neg_lo:[0,0,1] neg_hi:[0,0,1]
	v_mov_b32_e32 v5, v11
	s_wait_loadcnt 0x0
	s_delay_alu instid0(VALU_DEP_1)
	v_pk_add_f32 v[2:3], v[2:3], v[4:5]
	global_store_b64 v[0:1], v[2:3], off
.LBB4_2:
	s_endpgm
	.section	.rodata,"a",@progbits
	.p2align	6, 0x0
	.amdhsa_kernel _ZN9rocsolver6v33100L10ger_kernelI19rocblas_complex_numIfElPKS3_PS3_S6_S6_EEvT0_S7_T1_lT2_lS7_lT3_lS7_lT4_lS7_S7_l
		.amdhsa_group_segment_fixed_size 0
		.amdhsa_private_segment_fixed_size 0
		.amdhsa_kernarg_size 392
		.amdhsa_user_sgpr_count 2
		.amdhsa_user_sgpr_dispatch_ptr 0
		.amdhsa_user_sgpr_queue_ptr 0
		.amdhsa_user_sgpr_kernarg_segment_ptr 1
		.amdhsa_user_sgpr_dispatch_id 0
		.amdhsa_user_sgpr_kernarg_preload_length 0
		.amdhsa_user_sgpr_kernarg_preload_offset 0
		.amdhsa_user_sgpr_private_segment_size 0
		.amdhsa_wavefront_size32 1
		.amdhsa_uses_dynamic_stack 0
		.amdhsa_enable_private_segment 0
		.amdhsa_system_sgpr_workgroup_id_x 1
		.amdhsa_system_sgpr_workgroup_id_y 1
		.amdhsa_system_sgpr_workgroup_id_z 1
		.amdhsa_system_sgpr_workgroup_info 0
		.amdhsa_system_vgpr_workitem_id 1
		.amdhsa_next_free_vgpr 12
		.amdhsa_next_free_sgpr 52
		.amdhsa_named_barrier_count 0
		.amdhsa_reserve_vcc 1
		.amdhsa_float_round_mode_32 0
		.amdhsa_float_round_mode_16_64 0
		.amdhsa_float_denorm_mode_32 3
		.amdhsa_float_denorm_mode_16_64 3
		.amdhsa_fp16_overflow 0
		.amdhsa_memory_ordered 1
		.amdhsa_forward_progress 1
		.amdhsa_inst_pref_size 5
		.amdhsa_round_robin_scheduling 0
		.amdhsa_exception_fp_ieee_invalid_op 0
		.amdhsa_exception_fp_denorm_src 0
		.amdhsa_exception_fp_ieee_div_zero 0
		.amdhsa_exception_fp_ieee_overflow 0
		.amdhsa_exception_fp_ieee_underflow 0
		.amdhsa_exception_fp_ieee_inexact 0
		.amdhsa_exception_int_div_zero 0
	.end_amdhsa_kernel
	.section	.text._ZN9rocsolver6v33100L10ger_kernelI19rocblas_complex_numIfElPKS3_PS3_S6_S6_EEvT0_S7_T1_lT2_lS7_lT3_lS7_lT4_lS7_S7_l,"axG",@progbits,_ZN9rocsolver6v33100L10ger_kernelI19rocblas_complex_numIfElPKS3_PS3_S6_S6_EEvT0_S7_T1_lT2_lS7_lT3_lS7_lT4_lS7_S7_l,comdat
.Lfunc_end4:
	.size	_ZN9rocsolver6v33100L10ger_kernelI19rocblas_complex_numIfElPKS3_PS3_S6_S6_EEvT0_S7_T1_lT2_lS7_lT3_lS7_lT4_lS7_S7_l, .Lfunc_end4-_ZN9rocsolver6v33100L10ger_kernelI19rocblas_complex_numIfElPKS3_PS3_S6_S6_EEvT0_S7_T1_lT2_lS7_lT3_lS7_lT4_lS7_S7_l
                                        ; -- End function
	.set _ZN9rocsolver6v33100L10ger_kernelI19rocblas_complex_numIfElPKS3_PS3_S6_S6_EEvT0_S7_T1_lT2_lS7_lT3_lS7_lT4_lS7_S7_l.num_vgpr, 12
	.set _ZN9rocsolver6v33100L10ger_kernelI19rocblas_complex_numIfElPKS3_PS3_S6_S6_EEvT0_S7_T1_lT2_lS7_lT3_lS7_lT4_lS7_S7_l.num_agpr, 0
	.set _ZN9rocsolver6v33100L10ger_kernelI19rocblas_complex_numIfElPKS3_PS3_S6_S6_EEvT0_S7_T1_lT2_lS7_lT3_lS7_lT4_lS7_S7_l.numbered_sgpr, 52
	.set _ZN9rocsolver6v33100L10ger_kernelI19rocblas_complex_numIfElPKS3_PS3_S6_S6_EEvT0_S7_T1_lT2_lS7_lT3_lS7_lT4_lS7_S7_l.num_named_barrier, 0
	.set _ZN9rocsolver6v33100L10ger_kernelI19rocblas_complex_numIfElPKS3_PS3_S6_S6_EEvT0_S7_T1_lT2_lS7_lT3_lS7_lT4_lS7_S7_l.private_seg_size, 0
	.set _ZN9rocsolver6v33100L10ger_kernelI19rocblas_complex_numIfElPKS3_PS3_S6_S6_EEvT0_S7_T1_lT2_lS7_lT3_lS7_lT4_lS7_S7_l.uses_vcc, 1
	.set _ZN9rocsolver6v33100L10ger_kernelI19rocblas_complex_numIfElPKS3_PS3_S6_S6_EEvT0_S7_T1_lT2_lS7_lT3_lS7_lT4_lS7_S7_l.uses_flat_scratch, 0
	.set _ZN9rocsolver6v33100L10ger_kernelI19rocblas_complex_numIfElPKS3_PS3_S6_S6_EEvT0_S7_T1_lT2_lS7_lT3_lS7_lT4_lS7_S7_l.has_dyn_sized_stack, 0
	.set _ZN9rocsolver6v33100L10ger_kernelI19rocblas_complex_numIfElPKS3_PS3_S6_S6_EEvT0_S7_T1_lT2_lS7_lT3_lS7_lT4_lS7_S7_l.has_recursion, 0
	.set _ZN9rocsolver6v33100L10ger_kernelI19rocblas_complex_numIfElPKS3_PS3_S6_S6_EEvT0_S7_T1_lT2_lS7_lT3_lS7_lT4_lS7_S7_l.has_indirect_call, 0
	.section	.AMDGPU.csdata,"",@progbits
; Kernel info:
; codeLenInByte = 560
; TotalNumSgprs: 54
; NumVgprs: 12
; ScratchSize: 0
; MemoryBound: 0
; FloatMode: 240
; IeeeMode: 1
; LDSByteSize: 0 bytes/workgroup (compile time only)
; SGPRBlocks: 0
; VGPRBlocks: 0
; NumSGPRsForWavesPerEU: 54
; NumVGPRsForWavesPerEU: 12
; NamedBarCnt: 0
; Occupancy: 16
; WaveLimiterHint : 0
; COMPUTE_PGM_RSRC2:SCRATCH_EN: 0
; COMPUTE_PGM_RSRC2:USER_SGPR: 2
; COMPUTE_PGM_RSRC2:TRAP_HANDLER: 0
; COMPUTE_PGM_RSRC2:TGID_X_EN: 1
; COMPUTE_PGM_RSRC2:TGID_Y_EN: 1
; COMPUTE_PGM_RSRC2:TGID_Z_EN: 1
; COMPUTE_PGM_RSRC2:TIDIG_COMP_CNT: 1
	.section	.text._ZN9rocsolver6v33100L10ger_kernelI19rocblas_complex_numIfElS3_PS3_S4_S4_EEvT0_S5_T1_lT2_lS5_lT3_lS5_lT4_lS5_S5_l,"axG",@progbits,_ZN9rocsolver6v33100L10ger_kernelI19rocblas_complex_numIfElS3_PS3_S4_S4_EEvT0_S5_T1_lT2_lS5_lT3_lS5_lT4_lS5_S5_l,comdat
	.globl	_ZN9rocsolver6v33100L10ger_kernelI19rocblas_complex_numIfElS3_PS3_S4_S4_EEvT0_S5_T1_lT2_lS5_lT3_lS5_lT4_lS5_S5_l ; -- Begin function _ZN9rocsolver6v33100L10ger_kernelI19rocblas_complex_numIfElS3_PS3_S4_S4_EEvT0_S5_T1_lT2_lS5_lT3_lS5_lT4_lS5_S5_l
	.p2align	8
	.type	_ZN9rocsolver6v33100L10ger_kernelI19rocblas_complex_numIfElS3_PS3_S4_S4_EEvT0_S5_T1_lT2_lS5_lT3_lS5_lT4_lS5_S5_l,@function
_ZN9rocsolver6v33100L10ger_kernelI19rocblas_complex_numIfElS3_PS3_S4_S4_EEvT0_S5_T1_lT2_lS5_lT3_lS5_lT4_lS5_S5_l: ; @_ZN9rocsolver6v33100L10ger_kernelI19rocblas_complex_numIfElS3_PS3_S4_S4_EEvT0_S5_T1_lT2_lS5_lT3_lS5_lT4_lS5_S5_l
; %bb.0:
	s_clause 0x1
	s_load_b32 s2, s[0:1], 0x94
	s_load_b128 s[4:7], s[0:1], 0x0
	s_bfe_u32 s8, ttmp6, 0x40010
	s_bfe_u32 s11, ttmp6, 0x4000c
	s_and_b32 s3, ttmp7, 0xffff
	s_add_co_i32 s8, s8, 1
	s_add_co_i32 s11, s11, 1
	s_bfe_u32 s9, ttmp6, 0x40004
	s_and_b32 s10, ttmp6, 15
	s_mul_i32 s8, s3, s8
	s_mul_i32 s11, ttmp9, s11
	s_getreg_b32 s20, hwreg(HW_REG_IB_STS2, 6, 4)
	v_mov_b32_e32 v5, 0
	v_and_b32_e32 v4, 0x3ff, v0
	s_add_co_i32 s9, s9, s8
	s_add_co_i32 s10, s10, s11
	s_wait_kmcnt 0x0
	s_lshr_b32 s8, s2, 16
	s_and_b32 s2, s2, 0xffff
	s_cmp_eq_u32 s20, 0
	s_cselect_b32 s10, ttmp9, s10
	s_delay_alu instid0(SALU_CYCLE_1) | instskip(SKIP_3) | instid1(VALU_DEP_1)
	v_mad_nc_u64_u32 v[2:3], s2, s10, v[4:5]
	v_bfe_u32 v4, v0, 10, 10
	s_cselect_b32 s2, s3, s9
	s_mov_b32 s3, 0
	v_mad_nc_u64_u32 v[0:1], s8, s2, v[4:5]
	s_delay_alu instid0(VALU_DEP_3) | instskip(NEXT) | instid1(VALU_DEP_2)
	v_cmp_gt_i64_e32 vcc_lo, s[4:5], v[2:3]
	v_cmp_gt_i64_e64 s2, s[6:7], v[0:1]
	s_and_b32 s2, vcc_lo, s2
	s_delay_alu instid0(SALU_CYCLE_1)
	s_and_saveexec_b32 s4, s2
	s_cbranch_execz .LBB5_2
; %bb.1:
	s_clause 0x1
	s_load_b512 s[4:19], s[0:1], 0x20
	s_load_b256 s[24:31], s[0:1], 0x60
	s_bfe_u32 s2, ttmp6, 0x40014
	s_delay_alu instid0(SALU_CYCLE_1)
	s_add_co_i32 s2, s2, 1
	s_wait_kmcnt 0x0
	v_mul_u64_e32 v[4:5], s[8:9], v[2:3]
	v_mul_u64_e32 v[6:7], s[16:17], v[0:1]
	s_lshr_b32 s8, ttmp7, 16
	s_bfe_u32 s9, ttmp6, 0x40008
	s_mul_i32 s2, s8, s2
	v_mul_u64_e32 v[2:3], s[28:29], v[2:3]
	s_add_co_i32 s9, s9, s2
	s_cmp_eq_u32 s20, 0
	v_mul_u64_e32 v[0:1], s[30:31], v[0:1]
	s_cselect_b32 s2, s8, s9
	s_load_b64 s[8:9], s[0:1], 0x80
	s_mul_u64 s[10:11], s[10:11], s[2:3]
	s_lshl_b64 s[6:7], s[6:7], 3
	s_lshl_b64 s[10:11], s[10:11], 3
	s_delay_alu instid0(SALU_CYCLE_1) | instskip(NEXT) | instid1(SALU_CYCLE_1)
	s_add_nc_u64 s[4:5], s[4:5], s[10:11]
	s_add_nc_u64 s[4:5], s[4:5], s[6:7]
	s_lshl_b64 s[6:7], s[14:15], 3
	s_delay_alu instid0(VALU_DEP_4)
	v_lshl_add_u64 v[4:5], v[4:5], 3, s[4:5]
	s_mul_u64 s[4:5], s[18:19], s[2:3]
	s_wait_kmcnt 0x0
	s_mul_u64 s[2:3], s[8:9], s[2:3]
	s_lshl_b64 s[4:5], s[4:5], 3
	s_lshl_b64 s[2:3], s[2:3], 3
	global_load_b64 v[4:5], v[4:5], off
	s_add_nc_u64 s[4:5], s[12:13], s[4:5]
	s_add_nc_u64 s[2:3], s[24:25], s[2:3]
	s_add_nc_u64 s[4:5], s[4:5], s[6:7]
	s_delay_alu instid0(SALU_CYCLE_1) | instskip(SKIP_1) | instid1(SALU_CYCLE_1)
	v_lshl_add_u64 v[6:7], v[6:7], 3, s[4:5]
	s_lshl_b64 s[4:5], s[26:27], 3
	s_add_nc_u64 s[2:3], s[2:3], s[4:5]
	global_load_b64 v[6:7], v[6:7], off
	v_lshl_add_u64 v[2:3], v[2:3], 3, s[2:3]
	s_load_b64 s[2:3], s[0:1], 0x10
	s_delay_alu instid0(VALU_DEP_1) | instskip(SKIP_4) | instid1(VALU_DEP_1)
	v_lshl_add_u64 v[0:1], v[0:1], 3, v[2:3]
	global_load_b64 v[2:3], v[0:1], off
	s_wait_kmcnt 0x0
	v_mov_b64_e32 v[8:9], s[2:3]
	s_wait_loadcnt 0x2
	v_pk_mul_f32 v[10:11], v[8:9], v[4:5] op_sel:[1,0] op_sel_hi:[0,1]
	v_pk_mul_f32 v[4:5], v[8:9], v[4:5]
	s_delay_alu instid0(VALU_DEP_2) | instskip(NEXT) | instid1(VALU_DEP_2)
	v_add_f32_e32 v10, v10, v11
	v_pk_add_f32 v[4:5], v[4:5], v[4:5] op_sel:[0,1] op_sel_hi:[0,1] neg_lo:[0,1] neg_hi:[0,1]
	s_wait_loadcnt 0x1
	s_delay_alu instid0(VALU_DEP_2) | instskip(NEXT) | instid1(VALU_DEP_1)
	v_pk_mul_f32 v[8:9], v[6:7], v[10:11] op_sel:[1,0] op_sel_hi:[0,0]
	v_pk_fma_f32 v[10:11], v[6:7], v[4:5], v[8:9]
	v_pk_fma_f32 v[4:5], v[6:7], v[4:5], v[8:9] neg_lo:[0,0,1] neg_hi:[0,0,1]
	s_delay_alu instid0(VALU_DEP_2) | instskip(SKIP_1) | instid1(VALU_DEP_1)
	v_mov_b32_e32 v5, v11
	s_wait_loadcnt 0x0
	v_pk_add_f32 v[2:3], v[2:3], v[4:5]
	global_store_b64 v[0:1], v[2:3], off
.LBB5_2:
	s_endpgm
	.section	.rodata,"a",@progbits
	.p2align	6, 0x0
	.amdhsa_kernel _ZN9rocsolver6v33100L10ger_kernelI19rocblas_complex_numIfElS3_PS3_S4_S4_EEvT0_S5_T1_lT2_lS5_lT3_lS5_lT4_lS5_S5_l
		.amdhsa_group_segment_fixed_size 0
		.amdhsa_private_segment_fixed_size 0
		.amdhsa_kernarg_size 392
		.amdhsa_user_sgpr_count 2
		.amdhsa_user_sgpr_dispatch_ptr 0
		.amdhsa_user_sgpr_queue_ptr 0
		.amdhsa_user_sgpr_kernarg_segment_ptr 1
		.amdhsa_user_sgpr_dispatch_id 0
		.amdhsa_user_sgpr_kernarg_preload_length 0
		.amdhsa_user_sgpr_kernarg_preload_offset 0
		.amdhsa_user_sgpr_private_segment_size 0
		.amdhsa_wavefront_size32 1
		.amdhsa_uses_dynamic_stack 0
		.amdhsa_enable_private_segment 0
		.amdhsa_system_sgpr_workgroup_id_x 1
		.amdhsa_system_sgpr_workgroup_id_y 1
		.amdhsa_system_sgpr_workgroup_id_z 1
		.amdhsa_system_sgpr_workgroup_info 0
		.amdhsa_system_vgpr_workitem_id 1
		.amdhsa_next_free_vgpr 12
		.amdhsa_next_free_sgpr 32
		.amdhsa_named_barrier_count 0
		.amdhsa_reserve_vcc 1
		.amdhsa_float_round_mode_32 0
		.amdhsa_float_round_mode_16_64 0
		.amdhsa_float_denorm_mode_32 3
		.amdhsa_float_denorm_mode_16_64 3
		.amdhsa_fp16_overflow 0
		.amdhsa_memory_ordered 1
		.amdhsa_forward_progress 1
		.amdhsa_inst_pref_size 5
		.amdhsa_round_robin_scheduling 0
		.amdhsa_exception_fp_ieee_invalid_op 0
		.amdhsa_exception_fp_denorm_src 0
		.amdhsa_exception_fp_ieee_div_zero 0
		.amdhsa_exception_fp_ieee_overflow 0
		.amdhsa_exception_fp_ieee_underflow 0
		.amdhsa_exception_fp_ieee_inexact 0
		.amdhsa_exception_int_div_zero 0
	.end_amdhsa_kernel
	.section	.text._ZN9rocsolver6v33100L10ger_kernelI19rocblas_complex_numIfElS3_PS3_S4_S4_EEvT0_S5_T1_lT2_lS5_lT3_lS5_lT4_lS5_S5_l,"axG",@progbits,_ZN9rocsolver6v33100L10ger_kernelI19rocblas_complex_numIfElS3_PS3_S4_S4_EEvT0_S5_T1_lT2_lS5_lT3_lS5_lT4_lS5_S5_l,comdat
.Lfunc_end5:
	.size	_ZN9rocsolver6v33100L10ger_kernelI19rocblas_complex_numIfElS3_PS3_S4_S4_EEvT0_S5_T1_lT2_lS5_lT3_lS5_lT4_lS5_S5_l, .Lfunc_end5-_ZN9rocsolver6v33100L10ger_kernelI19rocblas_complex_numIfElS3_PS3_S4_S4_EEvT0_S5_T1_lT2_lS5_lT3_lS5_lT4_lS5_S5_l
                                        ; -- End function
	.set _ZN9rocsolver6v33100L10ger_kernelI19rocblas_complex_numIfElS3_PS3_S4_S4_EEvT0_S5_T1_lT2_lS5_lT3_lS5_lT4_lS5_S5_l.num_vgpr, 12
	.set _ZN9rocsolver6v33100L10ger_kernelI19rocblas_complex_numIfElS3_PS3_S4_S4_EEvT0_S5_T1_lT2_lS5_lT3_lS5_lT4_lS5_S5_l.num_agpr, 0
	.set _ZN9rocsolver6v33100L10ger_kernelI19rocblas_complex_numIfElS3_PS3_S4_S4_EEvT0_S5_T1_lT2_lS5_lT3_lS5_lT4_lS5_S5_l.numbered_sgpr, 32
	.set _ZN9rocsolver6v33100L10ger_kernelI19rocblas_complex_numIfElS3_PS3_S4_S4_EEvT0_S5_T1_lT2_lS5_lT3_lS5_lT4_lS5_S5_l.num_named_barrier, 0
	.set _ZN9rocsolver6v33100L10ger_kernelI19rocblas_complex_numIfElS3_PS3_S4_S4_EEvT0_S5_T1_lT2_lS5_lT3_lS5_lT4_lS5_S5_l.private_seg_size, 0
	.set _ZN9rocsolver6v33100L10ger_kernelI19rocblas_complex_numIfElS3_PS3_S4_S4_EEvT0_S5_T1_lT2_lS5_lT3_lS5_lT4_lS5_S5_l.uses_vcc, 1
	.set _ZN9rocsolver6v33100L10ger_kernelI19rocblas_complex_numIfElS3_PS3_S4_S4_EEvT0_S5_T1_lT2_lS5_lT3_lS5_lT4_lS5_S5_l.uses_flat_scratch, 0
	.set _ZN9rocsolver6v33100L10ger_kernelI19rocblas_complex_numIfElS3_PS3_S4_S4_EEvT0_S5_T1_lT2_lS5_lT3_lS5_lT4_lS5_S5_l.has_dyn_sized_stack, 0
	.set _ZN9rocsolver6v33100L10ger_kernelI19rocblas_complex_numIfElS3_PS3_S4_S4_EEvT0_S5_T1_lT2_lS5_lT3_lS5_lT4_lS5_S5_l.has_recursion, 0
	.set _ZN9rocsolver6v33100L10ger_kernelI19rocblas_complex_numIfElS3_PS3_S4_S4_EEvT0_S5_T1_lT2_lS5_lT3_lS5_lT4_lS5_S5_l.has_indirect_call, 0
	.section	.AMDGPU.csdata,"",@progbits
; Kernel info:
; codeLenInByte = 548
; TotalNumSgprs: 34
; NumVgprs: 12
; ScratchSize: 0
; MemoryBound: 0
; FloatMode: 240
; IeeeMode: 1
; LDSByteSize: 0 bytes/workgroup (compile time only)
; SGPRBlocks: 0
; VGPRBlocks: 0
; NumSGPRsForWavesPerEU: 34
; NumVGPRsForWavesPerEU: 12
; NamedBarCnt: 0
; Occupancy: 16
; WaveLimiterHint : 1
; COMPUTE_PGM_RSRC2:SCRATCH_EN: 0
; COMPUTE_PGM_RSRC2:USER_SGPR: 2
; COMPUTE_PGM_RSRC2:TRAP_HANDLER: 0
; COMPUTE_PGM_RSRC2:TGID_X_EN: 1
; COMPUTE_PGM_RSRC2:TGID_Y_EN: 1
; COMPUTE_PGM_RSRC2:TGID_Z_EN: 1
; COMPUTE_PGM_RSRC2:TIDIG_COMP_CNT: 1
	.section	.text._ZN9rocsolver6v33100L10ger_kernelI19rocblas_complex_numIfElPKS3_PKPS3_S8_S8_EEvT0_S9_T1_lT2_lS9_lT3_lS9_lT4_lS9_S9_l,"axG",@progbits,_ZN9rocsolver6v33100L10ger_kernelI19rocblas_complex_numIfElPKS3_PKPS3_S8_S8_EEvT0_S9_T1_lT2_lS9_lT3_lS9_lT4_lS9_S9_l,comdat
	.globl	_ZN9rocsolver6v33100L10ger_kernelI19rocblas_complex_numIfElPKS3_PKPS3_S8_S8_EEvT0_S9_T1_lT2_lS9_lT3_lS9_lT4_lS9_S9_l ; -- Begin function _ZN9rocsolver6v33100L10ger_kernelI19rocblas_complex_numIfElPKS3_PKPS3_S8_S8_EEvT0_S9_T1_lT2_lS9_lT3_lS9_lT4_lS9_S9_l
	.p2align	8
	.type	_ZN9rocsolver6v33100L10ger_kernelI19rocblas_complex_numIfElPKS3_PKPS3_S8_S8_EEvT0_S9_T1_lT2_lS9_lT3_lS9_lT4_lS9_S9_l,@function
_ZN9rocsolver6v33100L10ger_kernelI19rocblas_complex_numIfElPKS3_PKPS3_S8_S8_EEvT0_S9_T1_lT2_lS9_lT3_lS9_lT4_lS9_S9_l: ; @_ZN9rocsolver6v33100L10ger_kernelI19rocblas_complex_numIfElPKS3_PKPS3_S8_S8_EEvT0_S9_T1_lT2_lS9_lT3_lS9_lT4_lS9_S9_l
; %bb.0:
	s_load_b32 s2, s[0:1], 0x94
	s_bfe_u32 s13, ttmp6, 0x40010
	s_bfe_u32 s16, ttmp6, 0x4000c
	s_and_b32 s12, ttmp7, 0xffff
	s_add_co_i32 s13, s13, 1
	s_add_co_i32 s16, s16, 1
	s_load_b256 s[4:11], s[0:1], 0x0
	s_bfe_u32 s14, ttmp6, 0x40004
	s_and_b32 s15, ttmp6, 15
	s_wait_kmcnt 0x0
	s_mul_i32 s11, s12, s13
	s_mul_i32 s13, ttmp9, s16
	s_getreg_b32 s3, hwreg(HW_REG_IB_STS2, 6, 4)
	v_mov_b32_e32 v5, 0
	v_and_b32_e32 v4, 0x3ff, v0
	s_add_co_i32 s14, s14, s11
	s_add_co_i32 s15, s15, s13
	s_lshr_b32 s11, s2, 16
	s_and_b32 s2, s2, 0xffff
	s_cmp_eq_u32 s3, 0
	s_cselect_b32 s13, ttmp9, s15
	s_delay_alu instid0(SALU_CYCLE_1)
	v_mad_nc_u64_u32 v[2:3], s2, s13, v[4:5]
	v_bfe_u32 v4, v0, 10, 10
	s_cselect_b32 s2, s12, s14
	s_delay_alu instid0(VALU_DEP_1) | instid1(SALU_CYCLE_1)
	v_mad_nc_u64_u32 v[0:1], s11, s2, v[4:5]
	s_delay_alu instid0(VALU_DEP_3) | instskip(NEXT) | instid1(VALU_DEP_2)
	v_cmp_gt_i64_e32 vcc_lo, s[4:5], v[2:3]
	v_cmp_gt_i64_e64 s2, s[6:7], v[0:1]
	s_and_b32 s2, vcc_lo, s2
	s_delay_alu instid0(SALU_CYCLE_1)
	s_and_saveexec_b32 s4, s2
	s_cbranch_execz .LBB6_2
; %bb.1:
	s_load_b256 s[12:19], s[0:1], 0x20
	s_wait_kmcnt 0x0
	s_clause 0x2
	s_load_b64 s[18:19], s[0:1], 0x50
	s_load_b128 s[4:7], s[0:1], 0x40
	s_load_b256 s[20:27], s[0:1], 0x60
	s_wait_xcnt 0x0
	s_bfe_u32 s0, ttmp6, 0x40014
	s_lshr_b32 s1, ttmp7, 16
	s_add_co_i32 s0, s0, 1
	s_bfe_u32 s2, ttmp6, 0x40008
	s_mul_i32 s0, s1, s0
	s_delay_alu instid0(SALU_CYCLE_1)
	s_add_co_i32 s2, s2, s0
	s_cmp_eq_u32 s3, 0
	s_cselect_b32 s11, s1, s2
	s_wait_kmcnt 0x0
	v_mul_u64_e32 v[6:7], s[18:19], v[0:1]
	v_mul_u64_e32 v[4:5], s[16:17], v[2:3]
	s_load_b64 s[0:1], s[12:13], s11 offset:0x0 scale_offset
	s_load_b64 s[2:3], s[4:5], s11 offset:0x0 scale_offset
	v_mul_u64_e32 v[2:3], s[24:25], v[2:3]
	v_mul_u64_e32 v[0:1], s[26:27], v[0:1]
	s_wait_xcnt 0x0
	s_lshl_b64 s[4:5], s[14:15], 3
	s_wait_kmcnt 0x0
	s_add_nc_u64 s[0:1], s[0:1], s[4:5]
	s_load_b64 s[4:5], s[20:21], s11 offset:0x0 scale_offset
	s_delay_alu instid0(VALU_DEP_3) | instskip(SKIP_1) | instid1(SALU_CYCLE_1)
	v_lshl_add_u64 v[4:5], v[4:5], 3, s[0:1]
	s_lshl_b64 s[0:1], s[6:7], 3
	s_add_nc_u64 s[0:1], s[2:3], s[0:1]
	s_delay_alu instid0(SALU_CYCLE_1)
	v_lshl_add_u64 v[6:7], v[6:7], 3, s[0:1]
	flat_load_b64 v[4:5], v[4:5]
	s_lshl_b64 s[0:1], s[22:23], 3
	s_wait_kmcnt 0x0
	s_add_nc_u64 s[0:1], s[4:5], s[0:1]
	flat_load_b64 v[6:7], v[6:7]
	v_lshl_add_u64 v[2:3], v[2:3], 3, s[0:1]
	s_mul_i32 s0, s11, s10
	s_delay_alu instid0(SALU_CYCLE_1) | instskip(NEXT) | instid1(VALU_DEP_1)
	s_ashr_i32 s1, s0, 31
	v_lshl_add_u64 v[0:1], v[0:1], 3, v[2:3]
	s_lshl_b64 s[0:1], s[0:1], 3
	s_delay_alu instid0(SALU_CYCLE_1)
	s_add_nc_u64 s[0:1], s[8:9], s[0:1]
	flat_load_b64 v[2:3], v[0:1]
	s_load_b64 s[2:3], s[0:1], 0x0
	s_wait_kmcnt 0x0
	v_mov_b64_e32 v[8:9], s[2:3]
	s_wait_loadcnt_dscnt 0x202
	s_delay_alu instid0(VALU_DEP_1) | instskip(SKIP_1) | instid1(VALU_DEP_2)
	v_pk_mul_f32 v[10:11], v[8:9], v[4:5] op_sel:[1,0] op_sel_hi:[0,1]
	v_pk_mul_f32 v[4:5], v[8:9], v[4:5]
	v_add_f32_e32 v10, v10, v11
	s_delay_alu instid0(VALU_DEP_2) | instskip(SKIP_1) | instid1(VALU_DEP_2)
	v_pk_add_f32 v[4:5], v[4:5], v[4:5] op_sel:[0,1] op_sel_hi:[0,1] neg_lo:[0,1] neg_hi:[0,1]
	s_wait_loadcnt_dscnt 0x101
	v_pk_mul_f32 v[8:9], v[6:7], v[10:11] op_sel:[1,0] op_sel_hi:[0,0]
	s_delay_alu instid0(VALU_DEP_1) | instskip(SKIP_1) | instid1(VALU_DEP_2)
	v_pk_fma_f32 v[10:11], v[6:7], v[4:5], v[8:9]
	v_pk_fma_f32 v[4:5], v[6:7], v[4:5], v[8:9] neg_lo:[0,0,1] neg_hi:[0,0,1]
	v_mov_b32_e32 v5, v11
	s_wait_loadcnt_dscnt 0x0
	s_delay_alu instid0(VALU_DEP_1)
	v_pk_add_f32 v[2:3], v[2:3], v[4:5]
	flat_store_b64 v[0:1], v[2:3]
.LBB6_2:
	s_endpgm
	.section	.rodata,"a",@progbits
	.p2align	6, 0x0
	.amdhsa_kernel _ZN9rocsolver6v33100L10ger_kernelI19rocblas_complex_numIfElPKS3_PKPS3_S8_S8_EEvT0_S9_T1_lT2_lS9_lT3_lS9_lT4_lS9_S9_l
		.amdhsa_group_segment_fixed_size 0
		.amdhsa_private_segment_fixed_size 0
		.amdhsa_kernarg_size 392
		.amdhsa_user_sgpr_count 2
		.amdhsa_user_sgpr_dispatch_ptr 0
		.amdhsa_user_sgpr_queue_ptr 0
		.amdhsa_user_sgpr_kernarg_segment_ptr 1
		.amdhsa_user_sgpr_dispatch_id 0
		.amdhsa_user_sgpr_kernarg_preload_length 0
		.amdhsa_user_sgpr_kernarg_preload_offset 0
		.amdhsa_user_sgpr_private_segment_size 0
		.amdhsa_wavefront_size32 1
		.amdhsa_uses_dynamic_stack 0
		.amdhsa_enable_private_segment 0
		.amdhsa_system_sgpr_workgroup_id_x 1
		.amdhsa_system_sgpr_workgroup_id_y 1
		.amdhsa_system_sgpr_workgroup_id_z 1
		.amdhsa_system_sgpr_workgroup_info 0
		.amdhsa_system_vgpr_workitem_id 1
		.amdhsa_next_free_vgpr 12
		.amdhsa_next_free_sgpr 28
		.amdhsa_named_barrier_count 0
		.amdhsa_reserve_vcc 1
		.amdhsa_float_round_mode_32 0
		.amdhsa_float_round_mode_16_64 0
		.amdhsa_float_denorm_mode_32 3
		.amdhsa_float_denorm_mode_16_64 3
		.amdhsa_fp16_overflow 0
		.amdhsa_memory_ordered 1
		.amdhsa_forward_progress 1
		.amdhsa_inst_pref_size 5
		.amdhsa_round_robin_scheduling 0
		.amdhsa_exception_fp_ieee_invalid_op 0
		.amdhsa_exception_fp_denorm_src 0
		.amdhsa_exception_fp_ieee_div_zero 0
		.amdhsa_exception_fp_ieee_overflow 0
		.amdhsa_exception_fp_ieee_underflow 0
		.amdhsa_exception_fp_ieee_inexact 0
		.amdhsa_exception_int_div_zero 0
	.end_amdhsa_kernel
	.section	.text._ZN9rocsolver6v33100L10ger_kernelI19rocblas_complex_numIfElPKS3_PKPS3_S8_S8_EEvT0_S9_T1_lT2_lS9_lT3_lS9_lT4_lS9_S9_l,"axG",@progbits,_ZN9rocsolver6v33100L10ger_kernelI19rocblas_complex_numIfElPKS3_PKPS3_S8_S8_EEvT0_S9_T1_lT2_lS9_lT3_lS9_lT4_lS9_S9_l,comdat
.Lfunc_end6:
	.size	_ZN9rocsolver6v33100L10ger_kernelI19rocblas_complex_numIfElPKS3_PKPS3_S8_S8_EEvT0_S9_T1_lT2_lS9_lT3_lS9_lT4_lS9_S9_l, .Lfunc_end6-_ZN9rocsolver6v33100L10ger_kernelI19rocblas_complex_numIfElPKS3_PKPS3_S8_S8_EEvT0_S9_T1_lT2_lS9_lT3_lS9_lT4_lS9_S9_l
                                        ; -- End function
	.set _ZN9rocsolver6v33100L10ger_kernelI19rocblas_complex_numIfElPKS3_PKPS3_S8_S8_EEvT0_S9_T1_lT2_lS9_lT3_lS9_lT4_lS9_S9_l.num_vgpr, 12
	.set _ZN9rocsolver6v33100L10ger_kernelI19rocblas_complex_numIfElPKS3_PKPS3_S8_S8_EEvT0_S9_T1_lT2_lS9_lT3_lS9_lT4_lS9_S9_l.num_agpr, 0
	.set _ZN9rocsolver6v33100L10ger_kernelI19rocblas_complex_numIfElPKS3_PKPS3_S8_S8_EEvT0_S9_T1_lT2_lS9_lT3_lS9_lT4_lS9_S9_l.numbered_sgpr, 28
	.set _ZN9rocsolver6v33100L10ger_kernelI19rocblas_complex_numIfElPKS3_PKPS3_S8_S8_EEvT0_S9_T1_lT2_lS9_lT3_lS9_lT4_lS9_S9_l.num_named_barrier, 0
	.set _ZN9rocsolver6v33100L10ger_kernelI19rocblas_complex_numIfElPKS3_PKPS3_S8_S8_EEvT0_S9_T1_lT2_lS9_lT3_lS9_lT4_lS9_S9_l.private_seg_size, 0
	.set _ZN9rocsolver6v33100L10ger_kernelI19rocblas_complex_numIfElPKS3_PKPS3_S8_S8_EEvT0_S9_T1_lT2_lS9_lT3_lS9_lT4_lS9_S9_l.uses_vcc, 1
	.set _ZN9rocsolver6v33100L10ger_kernelI19rocblas_complex_numIfElPKS3_PKPS3_S8_S8_EEvT0_S9_T1_lT2_lS9_lT3_lS9_lT4_lS9_S9_l.uses_flat_scratch, 0
	.set _ZN9rocsolver6v33100L10ger_kernelI19rocblas_complex_numIfElPKS3_PKPS3_S8_S8_EEvT0_S9_T1_lT2_lS9_lT3_lS9_lT4_lS9_S9_l.has_dyn_sized_stack, 0
	.set _ZN9rocsolver6v33100L10ger_kernelI19rocblas_complex_numIfElPKS3_PKPS3_S8_S8_EEvT0_S9_T1_lT2_lS9_lT3_lS9_lT4_lS9_S9_l.has_recursion, 0
	.set _ZN9rocsolver6v33100L10ger_kernelI19rocblas_complex_numIfElPKS3_PKPS3_S8_S8_EEvT0_S9_T1_lT2_lS9_lT3_lS9_lT4_lS9_S9_l.has_indirect_call, 0
	.section	.AMDGPU.csdata,"",@progbits
; Kernel info:
; codeLenInByte = 576
; TotalNumSgprs: 30
; NumVgprs: 12
; ScratchSize: 0
; MemoryBound: 0
; FloatMode: 240
; IeeeMode: 1
; LDSByteSize: 0 bytes/workgroup (compile time only)
; SGPRBlocks: 0
; VGPRBlocks: 0
; NumSGPRsForWavesPerEU: 30
; NumVGPRsForWavesPerEU: 12
; NamedBarCnt: 0
; Occupancy: 16
; WaveLimiterHint : 1
; COMPUTE_PGM_RSRC2:SCRATCH_EN: 0
; COMPUTE_PGM_RSRC2:USER_SGPR: 2
; COMPUTE_PGM_RSRC2:TRAP_HANDLER: 0
; COMPUTE_PGM_RSRC2:TGID_X_EN: 1
; COMPUTE_PGM_RSRC2:TGID_Y_EN: 1
; COMPUTE_PGM_RSRC2:TGID_Z_EN: 1
; COMPUTE_PGM_RSRC2:TIDIG_COMP_CNT: 1
	.section	.text._ZN9rocsolver6v33100L10ger_kernelI19rocblas_complex_numIfElS3_PKPS3_S6_S6_EEvT0_S7_T1_lT2_lS7_lT3_lS7_lT4_lS7_S7_l,"axG",@progbits,_ZN9rocsolver6v33100L10ger_kernelI19rocblas_complex_numIfElS3_PKPS3_S6_S6_EEvT0_S7_T1_lT2_lS7_lT3_lS7_lT4_lS7_S7_l,comdat
	.globl	_ZN9rocsolver6v33100L10ger_kernelI19rocblas_complex_numIfElS3_PKPS3_S6_S6_EEvT0_S7_T1_lT2_lS7_lT3_lS7_lT4_lS7_S7_l ; -- Begin function _ZN9rocsolver6v33100L10ger_kernelI19rocblas_complex_numIfElS3_PKPS3_S6_S6_EEvT0_S7_T1_lT2_lS7_lT3_lS7_lT4_lS7_S7_l
	.p2align	8
	.type	_ZN9rocsolver6v33100L10ger_kernelI19rocblas_complex_numIfElS3_PKPS3_S6_S6_EEvT0_S7_T1_lT2_lS7_lT3_lS7_lT4_lS7_S7_l,@function
_ZN9rocsolver6v33100L10ger_kernelI19rocblas_complex_numIfElS3_PKPS3_S6_S6_EEvT0_S7_T1_lT2_lS7_lT3_lS7_lT4_lS7_S7_l: ; @_ZN9rocsolver6v33100L10ger_kernelI19rocblas_complex_numIfElS3_PKPS3_S6_S6_EEvT0_S7_T1_lT2_lS7_lT3_lS7_lT4_lS7_S7_l
; %bb.0:
	s_clause 0x1
	s_load_b32 s2, s[0:1], 0x94
	s_load_b128 s[4:7], s[0:1], 0x0
	s_bfe_u32 s9, ttmp6, 0x40010
	s_bfe_u32 s12, ttmp6, 0x4000c
	s_and_b32 s8, ttmp7, 0xffff
	s_add_co_i32 s9, s9, 1
	s_add_co_i32 s12, s12, 1
	s_bfe_u32 s10, ttmp6, 0x40004
	s_and_b32 s11, ttmp6, 15
	s_mul_i32 s9, s8, s9
	s_mul_i32 s12, ttmp9, s12
	s_getreg_b32 s3, hwreg(HW_REG_IB_STS2, 6, 4)
	v_mov_b32_e32 v5, 0
	v_and_b32_e32 v4, 0x3ff, v0
	s_add_co_i32 s10, s10, s9
	s_add_co_i32 s11, s11, s12
	s_wait_kmcnt 0x0
	s_lshr_b32 s9, s2, 16
	s_and_b32 s2, s2, 0xffff
	s_cmp_eq_u32 s3, 0
	s_cselect_b32 s11, ttmp9, s11
	s_delay_alu instid0(SALU_CYCLE_1)
	v_mad_nc_u64_u32 v[2:3], s2, s11, v[4:5]
	v_bfe_u32 v4, v0, 10, 10
	s_cselect_b32 s2, s8, s10
	s_delay_alu instid0(VALU_DEP_1) | instid1(SALU_CYCLE_1)
	v_mad_nc_u64_u32 v[0:1], s9, s2, v[4:5]
	s_delay_alu instid0(VALU_DEP_3) | instskip(NEXT) | instid1(VALU_DEP_2)
	v_cmp_gt_i64_e32 vcc_lo, s[4:5], v[2:3]
	v_cmp_gt_i64_e64 s2, s[6:7], v[0:1]
	s_and_b32 s2, vcc_lo, s2
	s_delay_alu instid0(SALU_CYCLE_1)
	s_and_saveexec_b32 s4, s2
	s_cbranch_execz .LBB7_2
; %bb.1:
	s_clause 0x4
	s_load_b64 s[20:21], s[0:1], 0x30
	s_load_b128 s[12:15], s[0:1], 0x20
	s_load_b64 s[22:23], s[0:1], 0x50
	s_load_b128 s[16:19], s[0:1], 0x40
	s_load_b256 s[4:11], s[0:1], 0x60
	s_bfe_u32 s2, ttmp6, 0x40014
	s_lshr_b32 s24, ttmp7, 16
	s_add_co_i32 s2, s2, 1
	s_delay_alu instid0(SALU_CYCLE_1)
	s_mul_i32 s2, s24, s2
	s_wait_kmcnt 0x0
	v_mul_u64_e32 v[4:5], s[20:21], v[2:3]
	s_bfe_u32 s20, ttmp6, 0x40008
	v_mul_u64_e32 v[6:7], s[22:23], v[0:1]
	s_add_co_i32 s20, s20, s2
	s_cmp_eq_u32 s3, 0
	v_mul_u64_e32 v[2:3], s[8:9], v[2:3]
	s_cselect_b32 s20, s24, s20
	v_mul_u64_e32 v[0:1], s[10:11], v[0:1]
	s_load_b64 s[2:3], s[12:13], s20 offset:0x0 scale_offset
	s_lshl_b64 s[8:9], s[14:15], 3
	s_wait_xcnt 0x0
	s_load_b64 s[12:13], s[16:17], s20 offset:0x0 scale_offset
	s_wait_kmcnt 0x0
	s_add_nc_u64 s[2:3], s[2:3], s[8:9]
	s_load_b64 s[4:5], s[4:5], s20 offset:0x0 scale_offset
	s_delay_alu instid0(VALU_DEP_4) | instskip(SKIP_1) | instid1(SALU_CYCLE_1)
	v_lshl_add_u64 v[4:5], v[4:5], 3, s[2:3]
	s_lshl_b64 s[2:3], s[18:19], 3
	s_add_nc_u64 s[2:3], s[12:13], s[2:3]
	s_delay_alu instid0(VALU_DEP_4) | instid1(SALU_CYCLE_1)
	v_lshl_add_u64 v[6:7], v[6:7], 3, s[2:3]
	flat_load_b64 v[4:5], v[4:5]
	s_lshl_b64 s[2:3], s[6:7], 3
	flat_load_b64 v[6:7], v[6:7]
	s_wait_kmcnt 0x0
	s_add_nc_u64 s[2:3], s[4:5], s[2:3]
	s_delay_alu instid0(SALU_CYCLE_1) | instskip(SKIP_1) | instid1(VALU_DEP_1)
	v_lshl_add_u64 v[2:3], v[2:3], 3, s[2:3]
	s_load_b64 s[2:3], s[0:1], 0x10
	v_lshl_add_u64 v[0:1], v[0:1], 3, v[2:3]
	flat_load_b64 v[2:3], v[0:1]
	s_wait_kmcnt 0x0
	v_mov_b64_e32 v[8:9], s[2:3]
	s_wait_loadcnt_dscnt 0x202
	s_delay_alu instid0(VALU_DEP_1) | instskip(SKIP_1) | instid1(VALU_DEP_2)
	v_pk_mul_f32 v[10:11], v[8:9], v[4:5] op_sel:[1,0] op_sel_hi:[0,1]
	v_pk_mul_f32 v[4:5], v[8:9], v[4:5]
	v_add_f32_e32 v10, v10, v11
	s_delay_alu instid0(VALU_DEP_2) | instskip(SKIP_1) | instid1(VALU_DEP_2)
	v_pk_add_f32 v[4:5], v[4:5], v[4:5] op_sel:[0,1] op_sel_hi:[0,1] neg_lo:[0,1] neg_hi:[0,1]
	s_wait_loadcnt_dscnt 0x101
	v_pk_mul_f32 v[8:9], v[6:7], v[10:11] op_sel:[1,0] op_sel_hi:[0,0]
	s_delay_alu instid0(VALU_DEP_1) | instskip(SKIP_1) | instid1(VALU_DEP_2)
	v_pk_fma_f32 v[10:11], v[6:7], v[4:5], v[8:9]
	v_pk_fma_f32 v[4:5], v[6:7], v[4:5], v[8:9] neg_lo:[0,0,1] neg_hi:[0,0,1]
	v_mov_b32_e32 v5, v11
	s_wait_loadcnt_dscnt 0x0
	s_delay_alu instid0(VALU_DEP_1)
	v_pk_add_f32 v[2:3], v[2:3], v[4:5]
	flat_store_b64 v[0:1], v[2:3]
.LBB7_2:
	s_endpgm
	.section	.rodata,"a",@progbits
	.p2align	6, 0x0
	.amdhsa_kernel _ZN9rocsolver6v33100L10ger_kernelI19rocblas_complex_numIfElS3_PKPS3_S6_S6_EEvT0_S7_T1_lT2_lS7_lT3_lS7_lT4_lS7_S7_l
		.amdhsa_group_segment_fixed_size 0
		.amdhsa_private_segment_fixed_size 0
		.amdhsa_kernarg_size 392
		.amdhsa_user_sgpr_count 2
		.amdhsa_user_sgpr_dispatch_ptr 0
		.amdhsa_user_sgpr_queue_ptr 0
		.amdhsa_user_sgpr_kernarg_segment_ptr 1
		.amdhsa_user_sgpr_dispatch_id 0
		.amdhsa_user_sgpr_kernarg_preload_length 0
		.amdhsa_user_sgpr_kernarg_preload_offset 0
		.amdhsa_user_sgpr_private_segment_size 0
		.amdhsa_wavefront_size32 1
		.amdhsa_uses_dynamic_stack 0
		.amdhsa_enable_private_segment 0
		.amdhsa_system_sgpr_workgroup_id_x 1
		.amdhsa_system_sgpr_workgroup_id_y 1
		.amdhsa_system_sgpr_workgroup_id_z 1
		.amdhsa_system_sgpr_workgroup_info 0
		.amdhsa_system_vgpr_workitem_id 1
		.amdhsa_next_free_vgpr 12
		.amdhsa_next_free_sgpr 25
		.amdhsa_named_barrier_count 0
		.amdhsa_reserve_vcc 1
		.amdhsa_float_round_mode_32 0
		.amdhsa_float_round_mode_16_64 0
		.amdhsa_float_denorm_mode_32 3
		.amdhsa_float_denorm_mode_16_64 3
		.amdhsa_fp16_overflow 0
		.amdhsa_memory_ordered 1
		.amdhsa_forward_progress 1
		.amdhsa_inst_pref_size 5
		.amdhsa_round_robin_scheduling 0
		.amdhsa_exception_fp_ieee_invalid_op 0
		.amdhsa_exception_fp_denorm_src 0
		.amdhsa_exception_fp_ieee_div_zero 0
		.amdhsa_exception_fp_ieee_overflow 0
		.amdhsa_exception_fp_ieee_underflow 0
		.amdhsa_exception_fp_ieee_inexact 0
		.amdhsa_exception_int_div_zero 0
	.end_amdhsa_kernel
	.section	.text._ZN9rocsolver6v33100L10ger_kernelI19rocblas_complex_numIfElS3_PKPS3_S6_S6_EEvT0_S7_T1_lT2_lS7_lT3_lS7_lT4_lS7_S7_l,"axG",@progbits,_ZN9rocsolver6v33100L10ger_kernelI19rocblas_complex_numIfElS3_PKPS3_S6_S6_EEvT0_S7_T1_lT2_lS7_lT3_lS7_lT4_lS7_S7_l,comdat
.Lfunc_end7:
	.size	_ZN9rocsolver6v33100L10ger_kernelI19rocblas_complex_numIfElS3_PKPS3_S6_S6_EEvT0_S7_T1_lT2_lS7_lT3_lS7_lT4_lS7_S7_l, .Lfunc_end7-_ZN9rocsolver6v33100L10ger_kernelI19rocblas_complex_numIfElS3_PKPS3_S6_S6_EEvT0_S7_T1_lT2_lS7_lT3_lS7_lT4_lS7_S7_l
                                        ; -- End function
	.set _ZN9rocsolver6v33100L10ger_kernelI19rocblas_complex_numIfElS3_PKPS3_S6_S6_EEvT0_S7_T1_lT2_lS7_lT3_lS7_lT4_lS7_S7_l.num_vgpr, 12
	.set _ZN9rocsolver6v33100L10ger_kernelI19rocblas_complex_numIfElS3_PKPS3_S6_S6_EEvT0_S7_T1_lT2_lS7_lT3_lS7_lT4_lS7_S7_l.num_agpr, 0
	.set _ZN9rocsolver6v33100L10ger_kernelI19rocblas_complex_numIfElS3_PKPS3_S6_S6_EEvT0_S7_T1_lT2_lS7_lT3_lS7_lT4_lS7_S7_l.numbered_sgpr, 25
	.set _ZN9rocsolver6v33100L10ger_kernelI19rocblas_complex_numIfElS3_PKPS3_S6_S6_EEvT0_S7_T1_lT2_lS7_lT3_lS7_lT4_lS7_S7_l.num_named_barrier, 0
	.set _ZN9rocsolver6v33100L10ger_kernelI19rocblas_complex_numIfElS3_PKPS3_S6_S6_EEvT0_S7_T1_lT2_lS7_lT3_lS7_lT4_lS7_S7_l.private_seg_size, 0
	.set _ZN9rocsolver6v33100L10ger_kernelI19rocblas_complex_numIfElS3_PKPS3_S6_S6_EEvT0_S7_T1_lT2_lS7_lT3_lS7_lT4_lS7_S7_l.uses_vcc, 1
	.set _ZN9rocsolver6v33100L10ger_kernelI19rocblas_complex_numIfElS3_PKPS3_S6_S6_EEvT0_S7_T1_lT2_lS7_lT3_lS7_lT4_lS7_S7_l.uses_flat_scratch, 0
	.set _ZN9rocsolver6v33100L10ger_kernelI19rocblas_complex_numIfElS3_PKPS3_S6_S6_EEvT0_S7_T1_lT2_lS7_lT3_lS7_lT4_lS7_S7_l.has_dyn_sized_stack, 0
	.set _ZN9rocsolver6v33100L10ger_kernelI19rocblas_complex_numIfElS3_PKPS3_S6_S6_EEvT0_S7_T1_lT2_lS7_lT3_lS7_lT4_lS7_S7_l.has_recursion, 0
	.set _ZN9rocsolver6v33100L10ger_kernelI19rocblas_complex_numIfElS3_PKPS3_S6_S6_EEvT0_S7_T1_lT2_lS7_lT3_lS7_lT4_lS7_S7_l.has_indirect_call, 0
	.section	.AMDGPU.csdata,"",@progbits
; Kernel info:
; codeLenInByte = 560
; TotalNumSgprs: 27
; NumVgprs: 12
; ScratchSize: 0
; MemoryBound: 0
; FloatMode: 240
; IeeeMode: 1
; LDSByteSize: 0 bytes/workgroup (compile time only)
; SGPRBlocks: 0
; VGPRBlocks: 0
; NumSGPRsForWavesPerEU: 27
; NumVGPRsForWavesPerEU: 12
; NamedBarCnt: 0
; Occupancy: 16
; WaveLimiterHint : 1
; COMPUTE_PGM_RSRC2:SCRATCH_EN: 0
; COMPUTE_PGM_RSRC2:USER_SGPR: 2
; COMPUTE_PGM_RSRC2:TRAP_HANDLER: 0
; COMPUTE_PGM_RSRC2:TGID_X_EN: 1
; COMPUTE_PGM_RSRC2:TGID_Y_EN: 1
; COMPUTE_PGM_RSRC2:TGID_Z_EN: 1
; COMPUTE_PGM_RSRC2:TIDIG_COMP_CNT: 1
	.section	.AMDGPU.gpr_maximums,"",@progbits
	.set amdgpu.max_num_vgpr, 0
	.set amdgpu.max_num_agpr, 0
	.set amdgpu.max_num_sgpr, 0
	.section	.AMDGPU.csdata,"",@progbits
	.type	__hip_cuid_e92c0a4fdb59fc01,@object ; @__hip_cuid_e92c0a4fdb59fc01
	.section	.bss,"aw",@nobits
	.globl	__hip_cuid_e92c0a4fdb59fc01
__hip_cuid_e92c0a4fdb59fc01:
	.byte	0                               ; 0x0
	.size	__hip_cuid_e92c0a4fdb59fc01, 1

	.ident	"AMD clang version 22.0.0git (https://github.com/RadeonOpenCompute/llvm-project roc-7.2.4 26084 f58b06dce1f9c15707c5f808fd002e18c2accf7e)"
	.section	".note.GNU-stack","",@progbits
	.addrsig
	.addrsig_sym __hip_cuid_e92c0a4fdb59fc01
	.amdgpu_metadata
---
amdhsa.kernels:
  - .args:
      - .offset:         0
        .size:           4
        .value_kind:     by_value
      - .offset:         4
        .size:           4
        .value_kind:     by_value
      - .address_space:  global
        .offset:         8
        .size:           8
        .value_kind:     global_buffer
      - .offset:         16
        .size:           8
        .value_kind:     by_value
      - .address_space:  global
        .offset:         24
        .size:           8
        .value_kind:     global_buffer
      - .offset:         32
        .size:           8
        .value_kind:     by_value
      - .offset:         40
        .size:           4
        .value_kind:     by_value
      - .offset:         48
        .size:           8
        .value_kind:     by_value
      - .address_space:  global
        .offset:         56
        .size:           8
        .value_kind:     global_buffer
      - .offset:         64
        .size:           8
        .value_kind:     by_value
      - .offset:         72
        .size:           4
        .value_kind:     by_value
      - .offset:         80
        .size:           8
        .value_kind:     by_value
      - .address_space:  global
        .offset:         88
        .size:           8
        .value_kind:     global_buffer
      - .offset:         96
        .size:           8
        .value_kind:     by_value
      - .offset:         104
        .size:           4
        .value_kind:     by_value
      - .offset:         108
        .size:           4
        .value_kind:     by_value
      - .offset:         112
        .size:           8
        .value_kind:     by_value
      - .offset:         120
        .size:           4
        .value_kind:     hidden_block_count_x
      - .offset:         124
        .size:           4
        .value_kind:     hidden_block_count_y
      - .offset:         128
        .size:           4
        .value_kind:     hidden_block_count_z
      - .offset:         132
        .size:           2
        .value_kind:     hidden_group_size_x
      - .offset:         134
        .size:           2
        .value_kind:     hidden_group_size_y
      - .offset:         136
        .size:           2
        .value_kind:     hidden_group_size_z
      - .offset:         138
        .size:           2
        .value_kind:     hidden_remainder_x
      - .offset:         140
        .size:           2
        .value_kind:     hidden_remainder_y
      - .offset:         142
        .size:           2
        .value_kind:     hidden_remainder_z
      - .offset:         160
        .size:           8
        .value_kind:     hidden_global_offset_x
      - .offset:         168
        .size:           8
        .value_kind:     hidden_global_offset_y
      - .offset:         176
        .size:           8
        .value_kind:     hidden_global_offset_z
      - .offset:         184
        .size:           2
        .value_kind:     hidden_grid_dims
    .group_segment_fixed_size: 0
    .kernarg_segment_align: 8
    .kernarg_segment_size: 376
    .language:       OpenCL C
    .language_version:
      - 2
      - 0
    .max_flat_workgroup_size: 1024
    .name:           _ZN9rocsolver6v33100L10ger_kernelI19rocblas_complex_numIfEiPKS3_PS3_S6_S6_EEvT0_S7_T1_lT2_lS7_lT3_lS7_lT4_lS7_S7_l
    .private_segment_fixed_size: 0
    .sgpr_count:     32
    .sgpr_spill_count: 0
    .symbol:         _ZN9rocsolver6v33100L10ger_kernelI19rocblas_complex_numIfEiPKS3_PS3_S6_S6_EEvT0_S7_T1_lT2_lS7_lT3_lS7_lT4_lS7_S7_l.kd
    .uniform_work_group_size: 1
    .uses_dynamic_stack: false
    .vgpr_count:     11
    .vgpr_spill_count: 0
    .wavefront_size: 32
  - .args:
      - .offset:         0
        .size:           4
        .value_kind:     by_value
      - .offset:         4
        .size:           4
        .value_kind:     by_value
      - .offset:         8
        .size:           8
        .value_kind:     by_value
      - .offset:         16
        .size:           8
        .value_kind:     by_value
      - .address_space:  global
        .offset:         24
        .size:           8
        .value_kind:     global_buffer
      - .offset:         32
        .size:           8
        .value_kind:     by_value
      - .offset:         40
        .size:           4
        .value_kind:     by_value
      - .offset:         48
        .size:           8
        .value_kind:     by_value
      - .address_space:  global
        .offset:         56
        .size:           8
        .value_kind:     global_buffer
      - .offset:         64
        .size:           8
        .value_kind:     by_value
      - .offset:         72
        .size:           4
        .value_kind:     by_value
      - .offset:         80
        .size:           8
        .value_kind:     by_value
      - .address_space:  global
        .offset:         88
        .size:           8
        .value_kind:     global_buffer
      - .offset:         96
        .size:           8
        .value_kind:     by_value
      - .offset:         104
        .size:           4
        .value_kind:     by_value
      - .offset:         108
        .size:           4
        .value_kind:     by_value
      - .offset:         112
        .size:           8
        .value_kind:     by_value
      - .offset:         120
        .size:           4
        .value_kind:     hidden_block_count_x
      - .offset:         124
        .size:           4
        .value_kind:     hidden_block_count_y
      - .offset:         128
        .size:           4
        .value_kind:     hidden_block_count_z
      - .offset:         132
        .size:           2
        .value_kind:     hidden_group_size_x
      - .offset:         134
        .size:           2
        .value_kind:     hidden_group_size_y
      - .offset:         136
        .size:           2
        .value_kind:     hidden_group_size_z
      - .offset:         138
        .size:           2
        .value_kind:     hidden_remainder_x
      - .offset:         140
        .size:           2
        .value_kind:     hidden_remainder_y
      - .offset:         142
        .size:           2
        .value_kind:     hidden_remainder_z
      - .offset:         160
        .size:           8
        .value_kind:     hidden_global_offset_x
      - .offset:         168
        .size:           8
        .value_kind:     hidden_global_offset_y
      - .offset:         176
        .size:           8
        .value_kind:     hidden_global_offset_z
      - .offset:         184
        .size:           2
        .value_kind:     hidden_grid_dims
    .group_segment_fixed_size: 0
    .kernarg_segment_align: 8
    .kernarg_segment_size: 376
    .language:       OpenCL C
    .language_version:
      - 2
      - 0
    .max_flat_workgroup_size: 1024
    .name:           _ZN9rocsolver6v33100L10ger_kernelI19rocblas_complex_numIfEiS3_PS3_S4_S4_EEvT0_S5_T1_lT2_lS5_lT3_lS5_lT4_lS5_S5_l
    .private_segment_fixed_size: 0
    .sgpr_count:     29
    .sgpr_spill_count: 0
    .symbol:         _ZN9rocsolver6v33100L10ger_kernelI19rocblas_complex_numIfEiS3_PS3_S4_S4_EEvT0_S5_T1_lT2_lS5_lT3_lS5_lT4_lS5_S5_l.kd
    .uniform_work_group_size: 1
    .uses_dynamic_stack: false
    .vgpr_count:     11
    .vgpr_spill_count: 0
    .wavefront_size: 32
  - .args:
      - .offset:         0
        .size:           4
        .value_kind:     by_value
      - .offset:         4
        .size:           4
        .value_kind:     by_value
      - .address_space:  global
        .offset:         8
        .size:           8
        .value_kind:     global_buffer
      - .offset:         16
        .size:           8
        .value_kind:     by_value
      - .address_space:  global
        .offset:         24
        .size:           8
        .value_kind:     global_buffer
      - .offset:         32
        .size:           8
        .value_kind:     by_value
      - .offset:         40
        .size:           4
        .value_kind:     by_value
      - .offset:         48
        .size:           8
        .value_kind:     by_value
      - .address_space:  global
        .offset:         56
        .size:           8
        .value_kind:     global_buffer
      - .offset:         64
        .size:           8
        .value_kind:     by_value
      - .offset:         72
        .size:           4
        .value_kind:     by_value
      - .offset:         80
        .size:           8
        .value_kind:     by_value
      - .address_space:  global
        .offset:         88
        .size:           8
        .value_kind:     global_buffer
      - .offset:         96
        .size:           8
        .value_kind:     by_value
      - .offset:         104
        .size:           4
        .value_kind:     by_value
      - .offset:         108
        .size:           4
        .value_kind:     by_value
      - .offset:         112
        .size:           8
        .value_kind:     by_value
      - .offset:         120
        .size:           4
        .value_kind:     hidden_block_count_x
      - .offset:         124
        .size:           4
        .value_kind:     hidden_block_count_y
      - .offset:         128
        .size:           4
        .value_kind:     hidden_block_count_z
      - .offset:         132
        .size:           2
        .value_kind:     hidden_group_size_x
      - .offset:         134
        .size:           2
        .value_kind:     hidden_group_size_y
      - .offset:         136
        .size:           2
        .value_kind:     hidden_group_size_z
      - .offset:         138
        .size:           2
        .value_kind:     hidden_remainder_x
      - .offset:         140
        .size:           2
        .value_kind:     hidden_remainder_y
      - .offset:         142
        .size:           2
        .value_kind:     hidden_remainder_z
      - .offset:         160
        .size:           8
        .value_kind:     hidden_global_offset_x
      - .offset:         168
        .size:           8
        .value_kind:     hidden_global_offset_y
      - .offset:         176
        .size:           8
        .value_kind:     hidden_global_offset_z
      - .offset:         184
        .size:           2
        .value_kind:     hidden_grid_dims
    .group_segment_fixed_size: 0
    .kernarg_segment_align: 8
    .kernarg_segment_size: 376
    .language:       OpenCL C
    .language_version:
      - 2
      - 0
    .max_flat_workgroup_size: 1024
    .name:           _ZN9rocsolver6v33100L10ger_kernelI19rocblas_complex_numIfEiPKS3_PKPS3_S8_S8_EEvT0_S9_T1_lT2_lS9_lT3_lS9_lT4_lS9_S9_l
    .private_segment_fixed_size: 0
    .sgpr_count:     28
    .sgpr_spill_count: 0
    .symbol:         _ZN9rocsolver6v33100L10ger_kernelI19rocblas_complex_numIfEiPKS3_PKPS3_S8_S8_EEvT0_S9_T1_lT2_lS9_lT3_lS9_lT4_lS9_S9_l.kd
    .uniform_work_group_size: 1
    .uses_dynamic_stack: false
    .vgpr_count:     11
    .vgpr_spill_count: 0
    .wavefront_size: 32
  - .args:
      - .offset:         0
        .size:           4
        .value_kind:     by_value
      - .offset:         4
        .size:           4
        .value_kind:     by_value
      - .offset:         8
        .size:           8
        .value_kind:     by_value
      - .offset:         16
        .size:           8
        .value_kind:     by_value
      - .address_space:  global
        .offset:         24
        .size:           8
        .value_kind:     global_buffer
      - .offset:         32
        .size:           8
        .value_kind:     by_value
      - .offset:         40
        .size:           4
        .value_kind:     by_value
      - .offset:         48
        .size:           8
        .value_kind:     by_value
      - .address_space:  global
        .offset:         56
        .size:           8
        .value_kind:     global_buffer
      - .offset:         64
        .size:           8
        .value_kind:     by_value
      - .offset:         72
        .size:           4
        .value_kind:     by_value
      - .offset:         80
        .size:           8
        .value_kind:     by_value
      - .address_space:  global
        .offset:         88
        .size:           8
        .value_kind:     global_buffer
      - .offset:         96
        .size:           8
        .value_kind:     by_value
      - .offset:         104
        .size:           4
        .value_kind:     by_value
      - .offset:         108
        .size:           4
        .value_kind:     by_value
      - .offset:         112
        .size:           8
        .value_kind:     by_value
      - .offset:         120
        .size:           4
        .value_kind:     hidden_block_count_x
      - .offset:         124
        .size:           4
        .value_kind:     hidden_block_count_y
      - .offset:         128
        .size:           4
        .value_kind:     hidden_block_count_z
      - .offset:         132
        .size:           2
        .value_kind:     hidden_group_size_x
      - .offset:         134
        .size:           2
        .value_kind:     hidden_group_size_y
      - .offset:         136
        .size:           2
        .value_kind:     hidden_group_size_z
      - .offset:         138
        .size:           2
        .value_kind:     hidden_remainder_x
      - .offset:         140
        .size:           2
        .value_kind:     hidden_remainder_y
      - .offset:         142
        .size:           2
        .value_kind:     hidden_remainder_z
      - .offset:         160
        .size:           8
        .value_kind:     hidden_global_offset_x
      - .offset:         168
        .size:           8
        .value_kind:     hidden_global_offset_y
      - .offset:         176
        .size:           8
        .value_kind:     hidden_global_offset_z
      - .offset:         184
        .size:           2
        .value_kind:     hidden_grid_dims
    .group_segment_fixed_size: 0
    .kernarg_segment_align: 8
    .kernarg_segment_size: 376
    .language:       OpenCL C
    .language_version:
      - 2
      - 0
    .max_flat_workgroup_size: 1024
    .name:           _ZN9rocsolver6v33100L10ger_kernelI19rocblas_complex_numIfEiS3_PKPS3_S6_S6_EEvT0_S7_T1_lT2_lS7_lT3_lS7_lT4_lS7_S7_l
    .private_segment_fixed_size: 0
    .sgpr_count:     25
    .sgpr_spill_count: 0
    .symbol:         _ZN9rocsolver6v33100L10ger_kernelI19rocblas_complex_numIfEiS3_PKPS3_S6_S6_EEvT0_S7_T1_lT2_lS7_lT3_lS7_lT4_lS7_S7_l.kd
    .uniform_work_group_size: 1
    .uses_dynamic_stack: false
    .vgpr_count:     11
    .vgpr_spill_count: 0
    .wavefront_size: 32
  - .args:
      - .offset:         0
        .size:           8
        .value_kind:     by_value
      - .offset:         8
        .size:           8
        .value_kind:     by_value
      - .address_space:  global
        .offset:         16
        .size:           8
        .value_kind:     global_buffer
      - .offset:         24
        .size:           8
        .value_kind:     by_value
      - .address_space:  global
        .offset:         32
        .size:           8
        .value_kind:     global_buffer
      - .offset:         40
        .size:           8
        .value_kind:     by_value
      - .offset:         48
        .size:           8
        .value_kind:     by_value
      - .offset:         56
        .size:           8
        .value_kind:     by_value
      - .address_space:  global
        .offset:         64
        .size:           8
        .value_kind:     global_buffer
      - .offset:         72
        .size:           8
        .value_kind:     by_value
      - .offset:         80
        .size:           8
        .value_kind:     by_value
      - .offset:         88
        .size:           8
        .value_kind:     by_value
      - .address_space:  global
        .offset:         96
        .size:           8
        .value_kind:     global_buffer
      - .offset:         104
        .size:           8
        .value_kind:     by_value
      - .offset:         112
        .size:           8
        .value_kind:     by_value
      - .offset:         120
        .size:           8
        .value_kind:     by_value
      - .offset:         128
        .size:           8
        .value_kind:     by_value
      - .offset:         136
        .size:           4
        .value_kind:     hidden_block_count_x
      - .offset:         140
        .size:           4
        .value_kind:     hidden_block_count_y
      - .offset:         144
        .size:           4
        .value_kind:     hidden_block_count_z
      - .offset:         148
        .size:           2
        .value_kind:     hidden_group_size_x
      - .offset:         150
        .size:           2
        .value_kind:     hidden_group_size_y
      - .offset:         152
        .size:           2
        .value_kind:     hidden_group_size_z
      - .offset:         154
        .size:           2
        .value_kind:     hidden_remainder_x
      - .offset:         156
        .size:           2
        .value_kind:     hidden_remainder_y
      - .offset:         158
        .size:           2
        .value_kind:     hidden_remainder_z
      - .offset:         176
        .size:           8
        .value_kind:     hidden_global_offset_x
      - .offset:         184
        .size:           8
        .value_kind:     hidden_global_offset_y
      - .offset:         192
        .size:           8
        .value_kind:     hidden_global_offset_z
      - .offset:         200
        .size:           2
        .value_kind:     hidden_grid_dims
    .group_segment_fixed_size: 0
    .kernarg_segment_align: 8
    .kernarg_segment_size: 392
    .language:       OpenCL C
    .language_version:
      - 2
      - 0
    .max_flat_workgroup_size: 1024
    .name:           _ZN9rocsolver6v33100L10ger_kernelI19rocblas_complex_numIfElPKS3_PS3_S6_S6_EEvT0_S7_T1_lT2_lS7_lT3_lS7_lT4_lS7_S7_l
    .private_segment_fixed_size: 0
    .sgpr_count:     54
    .sgpr_spill_count: 0
    .symbol:         _ZN9rocsolver6v33100L10ger_kernelI19rocblas_complex_numIfElPKS3_PS3_S6_S6_EEvT0_S7_T1_lT2_lS7_lT3_lS7_lT4_lS7_S7_l.kd
    .uniform_work_group_size: 1
    .uses_dynamic_stack: false
    .vgpr_count:     12
    .vgpr_spill_count: 0
    .wavefront_size: 32
  - .args:
      - .offset:         0
        .size:           8
        .value_kind:     by_value
      - .offset:         8
        .size:           8
        .value_kind:     by_value
      - .offset:         16
        .size:           8
        .value_kind:     by_value
      - .offset:         24
        .size:           8
        .value_kind:     by_value
      - .address_space:  global
        .offset:         32
        .size:           8
        .value_kind:     global_buffer
      - .offset:         40
        .size:           8
        .value_kind:     by_value
      - .offset:         48
        .size:           8
        .value_kind:     by_value
      - .offset:         56
        .size:           8
        .value_kind:     by_value
      - .address_space:  global
        .offset:         64
        .size:           8
        .value_kind:     global_buffer
      - .offset:         72
        .size:           8
        .value_kind:     by_value
      - .offset:         80
        .size:           8
        .value_kind:     by_value
      - .offset:         88
        .size:           8
        .value_kind:     by_value
      - .address_space:  global
        .offset:         96
        .size:           8
        .value_kind:     global_buffer
      - .offset:         104
        .size:           8
        .value_kind:     by_value
      - .offset:         112
        .size:           8
        .value_kind:     by_value
      - .offset:         120
        .size:           8
        .value_kind:     by_value
      - .offset:         128
        .size:           8
        .value_kind:     by_value
      - .offset:         136
        .size:           4
        .value_kind:     hidden_block_count_x
      - .offset:         140
        .size:           4
        .value_kind:     hidden_block_count_y
      - .offset:         144
        .size:           4
        .value_kind:     hidden_block_count_z
      - .offset:         148
        .size:           2
        .value_kind:     hidden_group_size_x
      - .offset:         150
        .size:           2
        .value_kind:     hidden_group_size_y
      - .offset:         152
        .size:           2
        .value_kind:     hidden_group_size_z
      - .offset:         154
        .size:           2
        .value_kind:     hidden_remainder_x
      - .offset:         156
        .size:           2
        .value_kind:     hidden_remainder_y
      - .offset:         158
        .size:           2
        .value_kind:     hidden_remainder_z
      - .offset:         176
        .size:           8
        .value_kind:     hidden_global_offset_x
      - .offset:         184
        .size:           8
        .value_kind:     hidden_global_offset_y
      - .offset:         192
        .size:           8
        .value_kind:     hidden_global_offset_z
      - .offset:         200
        .size:           2
        .value_kind:     hidden_grid_dims
    .group_segment_fixed_size: 0
    .kernarg_segment_align: 8
    .kernarg_segment_size: 392
    .language:       OpenCL C
    .language_version:
      - 2
      - 0
    .max_flat_workgroup_size: 1024
    .name:           _ZN9rocsolver6v33100L10ger_kernelI19rocblas_complex_numIfElS3_PS3_S4_S4_EEvT0_S5_T1_lT2_lS5_lT3_lS5_lT4_lS5_S5_l
    .private_segment_fixed_size: 0
    .sgpr_count:     34
    .sgpr_spill_count: 0
    .symbol:         _ZN9rocsolver6v33100L10ger_kernelI19rocblas_complex_numIfElS3_PS3_S4_S4_EEvT0_S5_T1_lT2_lS5_lT3_lS5_lT4_lS5_S5_l.kd
    .uniform_work_group_size: 1
    .uses_dynamic_stack: false
    .vgpr_count:     12
    .vgpr_spill_count: 0
    .wavefront_size: 32
  - .args:
      - .offset:         0
        .size:           8
        .value_kind:     by_value
      - .offset:         8
        .size:           8
        .value_kind:     by_value
      - .address_space:  global
        .offset:         16
        .size:           8
        .value_kind:     global_buffer
      - .offset:         24
        .size:           8
        .value_kind:     by_value
      - .address_space:  global
        .offset:         32
        .size:           8
        .value_kind:     global_buffer
      - .offset:         40
        .size:           8
        .value_kind:     by_value
      - .offset:         48
        .size:           8
        .value_kind:     by_value
      - .offset:         56
        .size:           8
        .value_kind:     by_value
      - .address_space:  global
        .offset:         64
        .size:           8
        .value_kind:     global_buffer
      - .offset:         72
        .size:           8
        .value_kind:     by_value
      - .offset:         80
        .size:           8
        .value_kind:     by_value
      - .offset:         88
        .size:           8
        .value_kind:     by_value
      - .address_space:  global
        .offset:         96
        .size:           8
        .value_kind:     global_buffer
      - .offset:         104
        .size:           8
        .value_kind:     by_value
      - .offset:         112
        .size:           8
        .value_kind:     by_value
      - .offset:         120
        .size:           8
        .value_kind:     by_value
      - .offset:         128
        .size:           8
        .value_kind:     by_value
      - .offset:         136
        .size:           4
        .value_kind:     hidden_block_count_x
      - .offset:         140
        .size:           4
        .value_kind:     hidden_block_count_y
      - .offset:         144
        .size:           4
        .value_kind:     hidden_block_count_z
      - .offset:         148
        .size:           2
        .value_kind:     hidden_group_size_x
      - .offset:         150
        .size:           2
        .value_kind:     hidden_group_size_y
      - .offset:         152
        .size:           2
        .value_kind:     hidden_group_size_z
      - .offset:         154
        .size:           2
        .value_kind:     hidden_remainder_x
      - .offset:         156
        .size:           2
        .value_kind:     hidden_remainder_y
      - .offset:         158
        .size:           2
        .value_kind:     hidden_remainder_z
      - .offset:         176
        .size:           8
        .value_kind:     hidden_global_offset_x
      - .offset:         184
        .size:           8
        .value_kind:     hidden_global_offset_y
      - .offset:         192
        .size:           8
        .value_kind:     hidden_global_offset_z
      - .offset:         200
        .size:           2
        .value_kind:     hidden_grid_dims
    .group_segment_fixed_size: 0
    .kernarg_segment_align: 8
    .kernarg_segment_size: 392
    .language:       OpenCL C
    .language_version:
      - 2
      - 0
    .max_flat_workgroup_size: 1024
    .name:           _ZN9rocsolver6v33100L10ger_kernelI19rocblas_complex_numIfElPKS3_PKPS3_S8_S8_EEvT0_S9_T1_lT2_lS9_lT3_lS9_lT4_lS9_S9_l
    .private_segment_fixed_size: 0
    .sgpr_count:     30
    .sgpr_spill_count: 0
    .symbol:         _ZN9rocsolver6v33100L10ger_kernelI19rocblas_complex_numIfElPKS3_PKPS3_S8_S8_EEvT0_S9_T1_lT2_lS9_lT3_lS9_lT4_lS9_S9_l.kd
    .uniform_work_group_size: 1
    .uses_dynamic_stack: false
    .vgpr_count:     12
    .vgpr_spill_count: 0
    .wavefront_size: 32
  - .args:
      - .offset:         0
        .size:           8
        .value_kind:     by_value
      - .offset:         8
        .size:           8
        .value_kind:     by_value
      - .offset:         16
        .size:           8
        .value_kind:     by_value
      - .offset:         24
        .size:           8
        .value_kind:     by_value
      - .address_space:  global
        .offset:         32
        .size:           8
        .value_kind:     global_buffer
      - .offset:         40
        .size:           8
        .value_kind:     by_value
      - .offset:         48
        .size:           8
        .value_kind:     by_value
      - .offset:         56
        .size:           8
        .value_kind:     by_value
      - .address_space:  global
        .offset:         64
        .size:           8
        .value_kind:     global_buffer
      - .offset:         72
        .size:           8
        .value_kind:     by_value
      - .offset:         80
        .size:           8
        .value_kind:     by_value
      - .offset:         88
        .size:           8
        .value_kind:     by_value
      - .address_space:  global
        .offset:         96
        .size:           8
        .value_kind:     global_buffer
      - .offset:         104
        .size:           8
        .value_kind:     by_value
      - .offset:         112
        .size:           8
        .value_kind:     by_value
      - .offset:         120
        .size:           8
        .value_kind:     by_value
      - .offset:         128
        .size:           8
        .value_kind:     by_value
      - .offset:         136
        .size:           4
        .value_kind:     hidden_block_count_x
      - .offset:         140
        .size:           4
        .value_kind:     hidden_block_count_y
      - .offset:         144
        .size:           4
        .value_kind:     hidden_block_count_z
      - .offset:         148
        .size:           2
        .value_kind:     hidden_group_size_x
      - .offset:         150
        .size:           2
        .value_kind:     hidden_group_size_y
      - .offset:         152
        .size:           2
        .value_kind:     hidden_group_size_z
      - .offset:         154
        .size:           2
        .value_kind:     hidden_remainder_x
      - .offset:         156
        .size:           2
        .value_kind:     hidden_remainder_y
      - .offset:         158
        .size:           2
        .value_kind:     hidden_remainder_z
      - .offset:         176
        .size:           8
        .value_kind:     hidden_global_offset_x
      - .offset:         184
        .size:           8
        .value_kind:     hidden_global_offset_y
      - .offset:         192
        .size:           8
        .value_kind:     hidden_global_offset_z
      - .offset:         200
        .size:           2
        .value_kind:     hidden_grid_dims
    .group_segment_fixed_size: 0
    .kernarg_segment_align: 8
    .kernarg_segment_size: 392
    .language:       OpenCL C
    .language_version:
      - 2
      - 0
    .max_flat_workgroup_size: 1024
    .name:           _ZN9rocsolver6v33100L10ger_kernelI19rocblas_complex_numIfElS3_PKPS3_S6_S6_EEvT0_S7_T1_lT2_lS7_lT3_lS7_lT4_lS7_S7_l
    .private_segment_fixed_size: 0
    .sgpr_count:     27
    .sgpr_spill_count: 0
    .symbol:         _ZN9rocsolver6v33100L10ger_kernelI19rocblas_complex_numIfElS3_PKPS3_S6_S6_EEvT0_S7_T1_lT2_lS7_lT3_lS7_lT4_lS7_S7_l.kd
    .uniform_work_group_size: 1
    .uses_dynamic_stack: false
    .vgpr_count:     12
    .vgpr_spill_count: 0
    .wavefront_size: 32
amdhsa.target:   amdgcn-amd-amdhsa--gfx1250
amdhsa.version:
  - 1
  - 2
...

	.end_amdgpu_metadata
